;; amdgpu-corpus repo=ROCm/rocFFT kind=compiled arch=gfx1201 opt=O3
	.text
	.amdgcn_target "amdgcn-amd-amdhsa--gfx1201"
	.amdhsa_code_object_version 6
	.protected	bluestein_single_fwd_len2040_dim1_dp_op_CI_CI ; -- Begin function bluestein_single_fwd_len2040_dim1_dp_op_CI_CI
	.globl	bluestein_single_fwd_len2040_dim1_dp_op_CI_CI
	.p2align	8
	.type	bluestein_single_fwd_len2040_dim1_dp_op_CI_CI,@function
bluestein_single_fwd_len2040_dim1_dp_op_CI_CI: ; @bluestein_single_fwd_len2040_dim1_dp_op_CI_CI
; %bb.0:
	s_load_b128 s[4:7], s[0:1], 0x28
	v_mul_u32_u24_e32 v1, 0x182, v0
	s_mov_b32 s2, exec_lo
	v_mov_b32_e32 v4, 0
	s_delay_alu instid0(VALU_DEP_2) | instskip(NEXT) | instid1(VALU_DEP_1)
	v_lshrrev_b32_e32 v1, 16, v1
	v_add_nc_u32_e32 v3, ttmp9, v1
	s_delay_alu instid0(VALU_DEP_1)
	v_mov_b32_e32 v2, v3
	scratch_store_b64 off, v[2:3], off offset:4 ; 8-byte Folded Spill
	s_wait_kmcnt 0x0
	v_cmpx_gt_u64_e64 s[4:5], v[3:4]
	s_cbranch_execz .LBB0_23
; %bb.1:
	v_mul_lo_u16 v1, 0xaa, v1
	s_clause 0x1
	s_load_b64 s[12:13], s[0:1], 0x0
	s_load_b64 s[14:15], s[0:1], 0x38
	s_delay_alu instid0(VALU_DEP_1) | instskip(NEXT) | instid1(VALU_DEP_1)
	v_sub_nc_u16 v0, v0, v1
	v_and_b32_e32 v1, 0xffff, v0
	v_cmp_gt_u16_e32 vcc_lo, 0x78, v0
	s_delay_alu instid0(VALU_DEP_2)
	v_lshlrev_b32_e32 v255, 4, v1
	v_or_b32_e32 v0, 0x780, v1
	s_clause 0x1
	scratch_store_b32 off, v1, off
	scratch_store_b32 off, v0, off offset:292
	s_and_saveexec_b32 s3, vcc_lo
	s_cbranch_execz .LBB0_3
; %bb.2:
	scratch_load_b64 v[0:1], off, off offset:4 ; 8-byte Folded Reload
	s_load_b64 s[4:5], s[0:1], 0x18
	s_wait_kmcnt 0x0
	s_load_b128 s[8:11], s[4:5], 0x0
	s_wait_kmcnt 0x0
	s_mul_u64 s[4:5], s[8:9], 0x780
	s_wait_loadcnt 0x0
	v_mov_b32_e32 v34, v0
	s_clause 0x1
	global_load_b128 v[0:3], v255, s[12:13]
	global_load_b128 v[4:7], v255, s[12:13] offset:1920
	scratch_load_b32 v35, off, off          ; 4-byte Folded Reload
	s_clause 0x5
	global_load_b128 v[8:11], v255, s[12:13] offset:3840
	global_load_b128 v[12:15], v255, s[12:13] offset:5760
	;; [unrolled: 1-line block ×6, first 2 shown]
	s_wait_loadcnt 0x6
	v_mad_co_u64_u32 v[60:61], null, s8, v35, 0
	v_or_b32_e32 v66, 0x780, v35
	s_delay_alu instid0(VALU_DEP_1) | instskip(NEXT) | instid1(VALU_DEP_3)
	v_mad_co_u64_u32 v[62:63], null, s8, v66, 0
	v_mov_b32_e32 v33, v61
	v_mad_co_u64_u32 v[56:57], null, s10, v34, 0
	s_delay_alu instid0(VALU_DEP_2) | instskip(NEXT) | instid1(VALU_DEP_1)
	v_mad_co_u64_u32 v[58:59], null, s9, v35, v[33:34]
	v_dual_mov_b32 v32, v57 :: v_dual_mov_b32 v61, v58
	s_delay_alu instid0(VALU_DEP_1)
	v_mad_co_u64_u32 v[48:49], null, s11, v34, v[32:33]
	s_clause 0x3
	global_load_b128 v[32:35], v255, s[12:13] offset:15360
	global_load_b128 v[36:39], v255, s[12:13] offset:17280
	;; [unrolled: 1-line block ×4, first 2 shown]
	v_lshlrev_b64_e32 v[60:61], 4, v[60:61]
	v_mov_b32_e32 v57, v48
	s_clause 0x1
	global_load_b128 v[48:51], v255, s[12:13] offset:23040
	global_load_b128 v[52:55], v255, s[12:13] offset:24960
	v_lshlrev_b64_e32 v[64:65], 4, v[56:57]
	global_load_b128 v[56:59], v255, s[12:13] offset:30720
	v_mad_co_u64_u32 v[66:67], null, s9, v66, v[63:64]
	v_add_co_u32 v67, s2, s6, v64
	s_delay_alu instid0(VALU_DEP_1) | instskip(NEXT) | instid1(VALU_DEP_2)
	v_add_co_ci_u32_e64 v70, s2, s7, v65, s2
	v_add_co_u32 v64, s2, v67, v60
	s_wait_alu 0xf1ff
	s_delay_alu instid0(VALU_DEP_2)
	v_add_co_ci_u32_e64 v65, s2, v70, v61, s2
	v_mov_b32_e32 v63, v66
	s_wait_alu 0xfffe
	v_add_co_u32 v68, s2, v64, s4
	s_wait_alu 0xf1ff
	v_add_co_ci_u32_e64 v69, s2, s5, v65, s2
	v_lshlrev_b64_e32 v[60:61], 4, v[62:63]
	s_delay_alu instid0(VALU_DEP_3) | instskip(SKIP_1) | instid1(VALU_DEP_3)
	v_add_co_u32 v72, s2, v68, s4
	s_wait_alu 0xf1ff
	v_add_co_ci_u32_e64 v73, s2, s5, v69, s2
	s_delay_alu instid0(VALU_DEP_3)
	v_add_co_u32 v60, s2, v67, v60
	s_wait_alu 0xf1ff
	v_add_co_ci_u32_e64 v61, s2, v70, v61, s2
	v_add_co_u32 v76, s2, v72, s4
	s_wait_alu 0xf1ff
	v_add_co_ci_u32_e64 v77, s2, s5, v73, s2
	global_load_b128 v[60:63], v[60:61], off
	v_add_co_u32 v80, s2, v76, s4
	s_wait_alu 0xf1ff
	v_add_co_ci_u32_e64 v81, s2, s5, v77, s2
	s_clause 0x1
	global_load_b128 v[64:67], v[64:65], off
	global_load_b128 v[68:71], v[68:69], off
	v_add_co_u32 v84, s2, v80, s4
	s_wait_alu 0xf1ff
	v_add_co_ci_u32_e64 v85, s2, s5, v81, s2
	s_clause 0x1
	global_load_b128 v[72:75], v[72:73], off
	global_load_b128 v[76:79], v[76:77], off
	v_add_co_u32 v88, s2, v84, s4
	s_wait_alu 0xf1ff
	v_add_co_ci_u32_e64 v89, s2, s5, v85, s2
	global_load_b128 v[80:83], v[80:81], off
	v_add_co_u32 v92, s2, v88, s4
	s_wait_alu 0xf1ff
	v_add_co_ci_u32_e64 v93, s2, s5, v89, s2
	;; [unrolled: 4-line block ×10, first 2 shown]
	global_load_b128 v[116:119], v[116:117], off
	global_load_b128 v[120:123], v[120:121], off
	s_clause 0x1
	global_load_b128 v[124:127], v255, s[12:13] offset:26880
	global_load_b128 v[128:131], v255, s[12:13] offset:28800
	global_load_b128 v[132:135], v[132:133], off
	s_wait_loadcnt 0x12
	v_mul_f64_e32 v[138:139], v[62:63], v[58:59]
	v_mul_f64_e32 v[170:171], v[60:61], v[58:59]
	s_wait_loadcnt 0x11
	v_mul_f64_e32 v[136:137], v[66:67], v[2:3]
	v_mul_f64_e32 v[2:3], v[64:65], v[2:3]
	;; [unrolled: 3-line block ×11, first 2 shown]
	v_fma_f64 v[64:65], v[64:65], v[0:1], v[136:137]
	v_fma_f64 v[66:67], v[66:67], v[0:1], -v[2:3]
	v_fma_f64 v[0:1], v[60:61], v[56:57], v[138:139]
	s_wait_loadcnt 0x7
	v_mul_f64_e32 v[158:159], v[106:107], v[42:43]
	v_mul_f64_e32 v[42:43], v[104:105], v[42:43]
	v_fma_f64 v[58:59], v[68:69], v[4:5], v[140:141]
	v_fma_f64 v[60:61], v[70:71], v[4:5], -v[6:7]
	v_fma_f64 v[4:5], v[72:73], v[8:9], v[142:143]
	s_wait_loadcnt 0x6
	v_mul_f64_e32 v[160:161], v[110:111], v[46:47]
	v_mul_f64_e32 v[46:47], v[108:109], v[46:47]
	v_fma_f64 v[6:7], v[74:75], v[8:9], -v[10:11]
	v_fma_f64 v[8:9], v[76:77], v[12:13], v[144:145]
	v_fma_f64 v[10:11], v[78:79], v[12:13], -v[14:15]
	s_wait_loadcnt 0x5
	v_mul_f64_e32 v[162:163], v[114:115], v[50:51]
	v_mul_f64_e32 v[50:51], v[112:113], v[50:51]
	s_wait_loadcnt 0x4
	v_mul_f64_e32 v[164:165], v[118:119], v[54:55]
	v_mul_f64_e32 v[54:55], v[116:117], v[54:55]
	;; [unrolled: 3-line block ×4, first 2 shown]
	v_fma_f64 v[12:13], v[80:81], v[16:17], v[146:147]
	v_fma_f64 v[14:15], v[82:83], v[16:17], -v[18:19]
	v_fma_f64 v[16:17], v[84:85], v[20:21], v[148:149]
	v_fma_f64 v[18:19], v[86:87], v[20:21], -v[22:23]
	;; [unrolled: 2-line block ×4, first 2 shown]
	v_fma_f64 v[2:3], v[62:63], v[56:57], -v[170:171]
	v_fma_f64 v[28:29], v[96:97], v[32:33], v[154:155]
	v_fma_f64 v[30:31], v[98:99], v[32:33], -v[34:35]
	v_fma_f64 v[32:33], v[100:101], v[36:37], v[156:157]
	;; [unrolled: 2-line block ×8, first 2 shown]
	v_fma_f64 v[70:71], v[134:135], v[128:129], -v[130:131]
	ds_store_b128 v255, v[64:67]
	ds_store_b128 v255, v[58:61] offset:1920
	ds_store_b128 v255, v[4:7] offset:3840
	;; [unrolled: 1-line block ×16, first 2 shown]
.LBB0_3:
	s_or_b32 exec_lo, exec_lo, s3
	s_clause 0x1
	s_load_b64 s[4:5], s[0:1], 0x20
	s_load_b64 s[2:3], s[0:1], 0x8
	global_wb scope:SCOPE_SE
	s_wait_storecnt_dscnt 0x0
	s_wait_kmcnt 0x0
	s_barrier_signal -1
	s_barrier_wait -1
	global_inv scope:SCOPE_SE
                                        ; implicit-def: $vgpr0_vgpr1
                                        ; implicit-def: $vgpr16_vgpr17
                                        ; implicit-def: $vgpr20_vgpr21
                                        ; implicit-def: $vgpr32_vgpr33
                                        ; implicit-def: $vgpr48_vgpr49
                                        ; implicit-def: $vgpr56_vgpr57
                                        ; implicit-def: $vgpr64_vgpr65
                                        ; implicit-def: $vgpr36_vgpr37
                                        ; implicit-def: $vgpr12_vgpr13
                                        ; implicit-def: $vgpr8_vgpr9
                                        ; implicit-def: $vgpr4_vgpr5
                                        ; implicit-def: $vgpr60_vgpr61
                                        ; implicit-def: $vgpr52_vgpr53
                                        ; implicit-def: $vgpr44_vgpr45
                                        ; implicit-def: $vgpr40_vgpr41
                                        ; implicit-def: $vgpr28_vgpr29
                                        ; implicit-def: $vgpr24_vgpr25
	s_and_saveexec_b32 s0, vcc_lo
	s_cbranch_execz .LBB0_5
; %bb.4:
	ds_load_b128 v[0:3], v255
	ds_load_b128 v[24:27], v255 offset:1920
	ds_load_b128 v[28:31], v255 offset:3840
	;; [unrolled: 1-line block ×16, first 2 shown]
.LBB0_5:
	s_wait_alu 0xfffe
	s_or_b32 exec_lo, exec_lo, s0
	s_wait_dscnt 0x0
	v_add_f64_e64 v[168:169], v[26:27], -v[6:7]
	v_add_f64_e64 v[90:91], v[30:31], -v[10:11]
	s_mov_b32 s0, 0x5d8e7cdc
	s_mov_b32 s10, 0x2a9d6da3
	;; [unrolled: 1-line block ×4, first 2 shown]
	v_add_f64_e32 v[164:165], v[4:5], v[24:25]
	v_add_f64_e64 v[88:89], v[28:29], -v[8:9]
	v_add_f64_e64 v[102:103], v[18:19], -v[14:15]
	s_mov_b32 s6, 0x370991
	s_mov_b32 s18, 0x7c9e640b
	;; [unrolled: 1-line block ×6, first 2 shown]
	v_add_f64_e64 v[182:183], v[24:25], -v[4:5]
	v_add_f64_e32 v[178:179], v[6:7], v[26:27]
	v_add_f64_e32 v[80:81], v[10:11], v[30:31]
	s_mov_b32 s16, 0x2b2883cd
	s_mov_b32 s17, 0x3fdc86fa
	v_add_f64_e64 v[100:101], v[16:17], -v[12:13]
	v_add_f64_e32 v[96:97], v[18:19], v[14:15]
	v_add_f64_e64 v[112:113], v[22:23], -v[38:39]
	s_mov_b32 s22, 0xeb564b22
	s_mov_b32 s23, 0xbfefdd0d
	v_add_f64_e32 v[92:93], v[20:21], v[36:37]
	s_mov_b32 s20, 0x3259b75e
	s_mov_b32 s21, 0x3fb79ee6
	v_add_f64_e64 v[114:115], v[20:21], -v[36:37]
	v_add_f64_e32 v[108:109], v[22:23], v[38:39]
	v_add_f64_e64 v[124:125], v[42:43], -v[66:67]
	s_mov_b32 s26, 0x923c349f
	s_mov_b32 s27, 0xbfeec746
	v_add_f64_e32 v[104:105], v[64:65], v[40:41]
	s_mov_b32 s24, 0xc61f0d01
	s_mov_b32 s25, 0xbfd183b1
	v_add_f64_e64 v[130:131], v[40:41], -v[64:65]
	v_add_f64_e32 v[120:121], v[66:67], v[42:43]
	s_wait_alu 0xfffe
	v_mul_f64_e32 v[68:69], s[0:1], v[168:169]
	v_mul_f64_e32 v[72:73], s[10:11], v[90:91]
	v_add_f64_e64 v[162:163], v[46:47], -v[58:59]
	s_mov_b32 s52, 0x6c9a05f6
	s_mov_b32 s53, 0xbfe9895b
	v_add_f64_e32 v[116:117], v[56:57], v[44:45]
	s_mov_b32 s28, 0x6ed5f1bb
	v_mul_f64_e32 v[74:75], s[10:11], v[88:89]
	v_mul_f64_e32 v[76:77], s[18:19], v[102:103]
	s_mov_b32 s29, 0xbfe348c8
	v_add_f64_e64 v[156:157], v[44:45], -v[56:57]
	v_add_f64_e32 v[132:133], v[58:59], v[46:47]
	v_add_f64_e64 v[172:173], v[34:35], -v[62:63]
	s_mov_b32 s36, 0x4363dd80
	s_mov_b32 s37, 0x3fe0d888
	;; [unrolled: 1-line block ×4, first 2 shown]
	v_add_f64_e32 v[126:127], v[32:33], v[60:61]
	s_mov_b32 s30, 0x910ea3b9
	s_mov_b32 s31, 0xbfeb34fa
	v_add_f64_e64 v[170:171], v[32:33], -v[60:61]
	v_add_f64_e32 v[152:153], v[34:35], v[62:63]
	v_add_f64_e64 v[176:177], v[50:51], -v[54:55]
	s_mov_b32 s38, 0xacd6c6b4
	s_mov_b32 s39, 0xbfc7851a
	v_add_f64_e32 v[136:137], v[48:49], v[52:53]
	s_mov_b32 s34, 0x7faef3
	s_mov_b32 s35, 0xbfef7484
	v_add_f64_e64 v[174:175], v[48:49], -v[52:53]
	v_add_f64_e32 v[158:159], v[50:51], v[54:55]
	v_mul_f64_e32 v[194:195], s[10:11], v[168:169]
	v_mul_f64_e32 v[196:197], s[10:11], v[182:183]
	s_mov_b32 s51, 0x3feec746
	s_mov_b32 s50, s26
	;; [unrolled: 1-line block ×6, first 2 shown]
	v_mul_f64_e32 v[198:199], s[18:19], v[168:169]
	s_clause 0x1
	scratch_store_b64 off, v[72:73], off offset:12
	scratch_store_b64 off, v[68:69], off offset:180
	v_fma_f64 v[68:69], v[164:165], s[6:7], v[68:69]
	v_mul_f64_e32 v[200:201], s[18:19], v[182:183]
	v_mul_f64_e32 v[214:215], s[52:53], v[88:89]
	s_mov_b32 s47, 0x3fc7851a
	s_clause 0x1
	scratch_store_b64 off, v[74:75], off offset:44
	scratch_store_b64 off, v[76:77], off offset:28
	v_fma_f64 v[74:75], v[80:81], s[8:9], -v[74:75]
	v_mul_f64_e32 v[220:221], s[50:51], v[156:157]
	s_mov_b32 s46, s38
	v_mul_f64_e32 v[238:239], s[50:51], v[114:115]
	v_mul_f64_e32 v[222:223], s[46:47], v[100:101]
	s_mov_b32 s49, 0x3fe58eea
	s_mov_b32 s48, s10
	v_mul_f64_e32 v[160:161], s[0:1], v[156:157]
	v_mul_f64_e32 v[234:235], s[48:49], v[124:125]
	;; [unrolled: 1-line block ×21, first 2 shown]
	s_mov_b32 s55, 0x3fe9895b
	s_mov_b32 s54, s52
	v_mul_f64_e32 v[249:250], s[48:49], v[176:177]
	v_mul_f64_e32 v[110:111], s[54:55], v[170:171]
	v_add_f64_e32 v[70:71], v[0:1], v[68:69]
	v_add_f64_e32 v[68:69], v[8:9], v[28:29]
	v_mul_f64_e32 v[206:207], s[26:27], v[168:169]
	v_mul_f64_e32 v[226:227], s[36:37], v[90:91]
	v_mul_f64_e32 v[208:209], s[26:27], v[182:183]
	v_mul_f64_e32 v[253:254], s[36:37], v[88:89]
	v_mul_f64_e32 v[241:242], s[48:49], v[102:103]
	v_mul_f64_e32 v[243:244], s[18:19], v[112:113]
	v_mul_f64_e32 v[180:181], s[18:19], v[114:115]
	v_mul_f64_e32 v[190:191], s[38:39], v[130:131]
	s_mov_b32 s57, 0x3fefdd0d
	s_mov_b32 s56, s22
	v_mul_f64_e32 v[184:185], s[0:1], v[170:171]
	v_mul_f64_e32 v[186:187], s[56:57], v[162:163]
	;; [unrolled: 1-line block ×4, first 2 shown]
	v_fma_f64 v[72:73], v[68:69], s[8:9], v[72:73]
	v_fma_f64 v[122:123], v[68:69], s[30:31], v[226:227]
	v_fma_f64 v[128:129], v[80:81], s[30:31], -v[253:254]
	s_delay_alu instid0(VALU_DEP_3) | instskip(SKIP_3) | instid1(VALU_DEP_1)
	v_add_f64_e32 v[70:71], v[72:73], v[70:71]
	v_mul_f64_e32 v[72:73], s[0:1], v[182:183]
	scratch_store_b64 off, v[72:73], off offset:196 ; 8-byte Folded Spill
	v_fma_f64 v[72:73], v[178:179], s[6:7], -v[72:73]
	v_add_f64_e32 v[72:73], v[2:3], v[72:73]
	s_delay_alu instid0(VALU_DEP_1) | instskip(SKIP_1) | instid1(VALU_DEP_1)
	v_add_f64_e32 v[74:75], v[74:75], v[72:73]
	v_add_f64_e32 v[72:73], v[16:17], v[12:13]
	v_fma_f64 v[76:77], v[72:73], s[16:17], v[76:77]
	s_delay_alu instid0(VALU_DEP_1) | instskip(SKIP_3) | instid1(VALU_DEP_1)
	v_add_f64_e32 v[70:71], v[76:77], v[70:71]
	v_mul_f64_e32 v[76:77], s[18:19], v[100:101]
	scratch_store_b64 off, v[76:77], off offset:76 ; 8-byte Folded Spill
	v_fma_f64 v[76:77], v[96:97], s[16:17], -v[76:77]
	v_add_f64_e32 v[74:75], v[76:77], v[74:75]
	v_mul_f64_e32 v[76:77], s[22:23], v[112:113]
	scratch_store_b64 off, v[76:77], off offset:60 ; 8-byte Folded Spill
	v_fma_f64 v[76:77], v[92:93], s[20:21], v[76:77]
	s_delay_alu instid0(VALU_DEP_1) | instskip(SKIP_3) | instid1(VALU_DEP_1)
	v_add_f64_e32 v[70:71], v[76:77], v[70:71]
	v_mul_f64_e32 v[76:77], s[22:23], v[114:115]
	scratch_store_b64 off, v[76:77], off offset:108 ; 8-byte Folded Spill
	v_fma_f64 v[76:77], v[108:109], s[20:21], -v[76:77]
	v_add_f64_e32 v[74:75], v[76:77], v[74:75]
	v_mul_f64_e32 v[76:77], s[26:27], v[124:125]
	scratch_store_b64 off, v[76:77], off offset:92 ; 8-byte Folded Spill
	;; [unrolled: 9-line block ×5, first 2 shown]
	v_fma_f64 v[76:77], v[136:137], s[34:35], v[76:77]
	s_delay_alu instid0(VALU_DEP_1)
	v_add_f64_e32 v[140:141], v[76:77], v[70:71]
	v_mul_f64_e32 v[70:71], s[38:39], v[174:175]
	v_mul_f64_e32 v[76:77], s[22:23], v[88:89]
	s_clause 0x1
	scratch_store_b64 off, v[70:71], off offset:164
	scratch_store_b64 off, v[76:77], off offset:260
	v_fma_f64 v[70:71], v[158:159], s[34:35], -v[70:71]
	v_fma_f64 v[76:77], v[80:81], s[20:21], -v[76:77]
	s_delay_alu instid0(VALU_DEP_2) | instskip(SKIP_2) | instid1(VALU_DEP_2)
	v_add_f64_e32 v[142:143], v[70:71], v[74:75]
	v_fma_f64 v[70:71], v[164:165], s[8:9], v[194:195]
	v_mul_f64_e32 v[74:75], s[22:23], v[90:91]
	v_add_f64_e32 v[70:71], v[0:1], v[70:71]
	scratch_store_b64 off, v[74:75], off offset:212 ; 8-byte Folded Spill
	v_fma_f64 v[74:75], v[68:69], s[20:21], v[74:75]
	s_delay_alu instid0(VALU_DEP_1) | instskip(SKIP_1) | instid1(VALU_DEP_1)
	v_add_f64_e32 v[70:71], v[74:75], v[70:71]
	v_fma_f64 v[74:75], v[178:179], s[8:9], -v[196:197]
	v_add_f64_e32 v[74:75], v[2:3], v[74:75]
	s_delay_alu instid0(VALU_DEP_1) | instskip(SKIP_3) | instid1(VALU_DEP_1)
	v_add_f64_e32 v[74:75], v[76:77], v[74:75]
	v_mul_f64_e32 v[76:77], s[52:53], v[102:103]
	scratch_store_b64 off, v[76:77], off offset:228 ; 8-byte Folded Spill
	v_fma_f64 v[76:77], v[72:73], s[28:29], v[76:77]
	v_add_f64_e32 v[70:71], v[76:77], v[70:71]
	v_mul_f64_e32 v[76:77], s[52:53], v[100:101]
	scratch_store_b64 off, v[76:77], off offset:276 ; 8-byte Folded Spill
	v_fma_f64 v[76:77], v[96:97], s[28:29], -v[76:77]
	s_delay_alu instid0(VALU_DEP_1) | instskip(SKIP_3) | instid1(VALU_DEP_1)
	v_add_f64_e32 v[74:75], v[76:77], v[74:75]
	v_mul_f64_e32 v[76:77], s[38:39], v[112:113]
	scratch_store_b64 off, v[76:77], off offset:244 ; 8-byte Folded Spill
	v_fma_f64 v[76:77], v[92:93], s[34:35], v[76:77]
	v_add_f64_e32 v[70:71], v[76:77], v[70:71]
	v_mul_f64_e32 v[76:77], s[38:39], v[114:115]
	scratch_store_b64 off, v[76:77], off offset:344 ; 8-byte Folded Spill
	v_fma_f64 v[76:77], v[108:109], s[34:35], -v[76:77]
	;; [unrolled: 9-line block ×3, first 2 shown]
	s_delay_alu instid0(VALU_DEP_1) | instskip(SKIP_3) | instid1(VALU_DEP_1)
	v_add_f64_e32 v[74:75], v[76:77], v[74:75]
	v_mul_f64_e32 v[76:77], s[50:51], v[162:163]
	scratch_store_b64 off, v[76:77], off offset:376 ; 8-byte Folded Spill
	v_fma_f64 v[76:77], v[116:117], s[24:25], v[76:77]
	v_add_f64_e32 v[70:71], v[76:77], v[70:71]
	v_fma_f64 v[76:77], v[132:133], s[24:25], -v[220:221]
	s_delay_alu instid0(VALU_DEP_1) | instskip(SKIP_3) | instid1(VALU_DEP_1)
	v_add_f64_e32 v[74:75], v[76:77], v[74:75]
	v_mul_f64_e32 v[76:77], s[44:45], v[172:173]
	scratch_store_b64 off, v[76:77], off offset:312 ; 8-byte Folded Spill
	v_fma_f64 v[76:77], v[126:127], s[16:17], v[76:77]
	v_add_f64_e32 v[70:71], v[76:77], v[70:71]
	v_fma_f64 v[76:77], v[152:153], s[16:17], -v[212:213]
	s_delay_alu instid0(VALU_DEP_1) | instskip(SKIP_3) | instid1(VALU_DEP_1)
	v_add_f64_e32 v[74:75], v[76:77], v[74:75]
	v_mul_f64_e32 v[76:77], s[42:43], v[176:177]
	scratch_store_b64 off, v[76:77], off offset:360 ; 8-byte Folded Spill
	v_fma_f64 v[76:77], v[136:137], s[6:7], v[76:77]
	v_add_f64_e32 v[84:85], v[76:77], v[70:71]
	v_fma_f64 v[70:71], v[158:159], s[6:7], -v[218:219]
	v_fma_f64 v[76:77], v[80:81], s[28:29], -v[214:215]
	s_delay_alu instid0(VALU_DEP_2) | instskip(SKIP_2) | instid1(VALU_DEP_2)
	v_add_f64_e32 v[86:87], v[70:71], v[74:75]
	v_fma_f64 v[70:71], v[164:165], s[16:17], v[198:199]
	v_mul_f64_e32 v[74:75], s[52:53], v[90:91]
	v_add_f64_e32 v[70:71], v[0:1], v[70:71]
	scratch_store_b64 off, v[74:75], off offset:328 ; 8-byte Folded Spill
	v_fma_f64 v[74:75], v[68:69], s[28:29], v[74:75]
	s_delay_alu instid0(VALU_DEP_1) | instskip(SKIP_1) | instid1(VALU_DEP_1)
	v_add_f64_e32 v[70:71], v[74:75], v[70:71]
	v_fma_f64 v[74:75], v[178:179], s[16:17], -v[200:201]
	v_add_f64_e32 v[74:75], v[2:3], v[74:75]
	s_delay_alu instid0(VALU_DEP_1) | instskip(SKIP_3) | instid1(VALU_DEP_1)
	v_add_f64_e32 v[74:75], v[76:77], v[74:75]
	v_mul_f64_e32 v[76:77], s[46:47], v[102:103]
	scratch_store_b64 off, v[76:77], off offset:392 ; 8-byte Folded Spill
	v_fma_f64 v[76:77], v[72:73], s[34:35], v[76:77]
	v_add_f64_e32 v[70:71], v[76:77], v[70:71]
	v_fma_f64 v[76:77], v[96:97], s[34:35], -v[222:223]
	s_delay_alu instid0(VALU_DEP_1)
	v_add_f64_e32 v[74:75], v[76:77], v[74:75]
	v_mul_f64_e32 v[76:77], s[50:51], v[112:113]
	scratch_store_b64 off, v[76:77], off offset:408 ; 8-byte Folded Spill
	v_fma_f64 v[76:77], v[92:93], s[24:25], v[76:77]
	global_wb scope:SCOPE_SE
	s_wait_storecnt 0x0
	s_barrier_signal -1
	s_barrier_wait -1
	global_inv scope:SCOPE_SE
	v_add_f64_e32 v[70:71], v[76:77], v[70:71]
	v_fma_f64 v[76:77], v[108:109], s[24:25], -v[238:239]
	s_delay_alu instid0(VALU_DEP_1) | instskip(SKIP_1) | instid1(VALU_DEP_1)
	v_add_f64_e32 v[74:75], v[76:77], v[74:75]
	v_fma_f64 v[76:77], v[104:105], s[8:9], v[234:235]
	v_add_f64_e32 v[70:71], v[76:77], v[70:71]
	v_fma_f64 v[76:77], v[120:121], s[8:9], -v[94:95]
	s_delay_alu instid0(VALU_DEP_1) | instskip(SKIP_1) | instid1(VALU_DEP_1)
	v_add_f64_e32 v[76:77], v[76:77], v[74:75]
	v_mul_f64_e32 v[74:75], s[0:1], v[162:163]
	v_fma_f64 v[78:79], v[116:117], s[6:7], v[74:75]
	s_delay_alu instid0(VALU_DEP_1) | instskip(SKIP_1) | instid1(VALU_DEP_1)
	v_add_f64_e32 v[70:71], v[78:79], v[70:71]
	v_fma_f64 v[78:79], v[132:133], s[6:7], -v[160:161]
	v_add_f64_e32 v[76:77], v[78:79], v[76:77]
	v_fma_f64 v[78:79], v[126:127], s[20:21], v[236:237]
	s_delay_alu instid0(VALU_DEP_1) | instskip(SKIP_1) | instid1(VALU_DEP_1)
	v_add_f64_e32 v[70:71], v[78:79], v[70:71]
	v_fma_f64 v[78:79], v[152:153], s[20:21], -v[247:248]
	v_add_f64_e32 v[76:77], v[78:79], v[76:77]
	v_fma_f64 v[78:79], v[136:137], s[30:31], v[230:231]
	s_delay_alu instid0(VALU_DEP_1) | instskip(SKIP_2) | instid1(VALU_DEP_2)
	v_add_f64_e32 v[144:145], v[78:79], v[70:71]
	v_fma_f64 v[70:71], v[158:159], s[30:31], -v[245:246]
	v_fma_f64 v[78:79], v[80:81], s[34:35], -v[232:233]
	v_add_f64_e32 v[146:147], v[70:71], v[76:77]
	v_fma_f64 v[70:71], v[164:165], s[20:21], v[202:203]
	v_fma_f64 v[76:77], v[68:69], s[34:35], v[216:217]
	s_delay_alu instid0(VALU_DEP_2) | instskip(NEXT) | instid1(VALU_DEP_1)
	v_add_f64_e32 v[70:71], v[0:1], v[70:71]
	v_add_f64_e32 v[70:71], v[76:77], v[70:71]
	v_fma_f64 v[76:77], v[178:179], s[20:21], -v[204:205]
	s_delay_alu instid0(VALU_DEP_1) | instskip(NEXT) | instid1(VALU_DEP_1)
	v_add_f64_e32 v[76:77], v[2:3], v[76:77]
	v_add_f64_e32 v[76:77], v[78:79], v[76:77]
	v_fma_f64 v[78:79], v[72:73], s[24:25], v[224:225]
	s_delay_alu instid0(VALU_DEP_1) | instskip(SKIP_1) | instid1(VALU_DEP_1)
	v_add_f64_e32 v[70:71], v[78:79], v[70:71]
	v_fma_f64 v[78:79], v[96:97], s[24:25], -v[251:252]
	v_add_f64_e32 v[76:77], v[78:79], v[76:77]
	v_fma_f64 v[78:79], v[92:93], s[6:7], v[228:229]
	s_delay_alu instid0(VALU_DEP_1) | instskip(SKIP_1) | instid1(VALU_DEP_1)
	v_add_f64_e32 v[70:71], v[78:79], v[70:71]
	v_fma_f64 v[78:79], v[108:109], s[6:7], -v[106:107]
	;; [unrolled: 5-line block ×4, first 2 shown]
	v_add_f64_e32 v[76:77], v[70:71], v[76:77]
	v_mul_f64_e32 v[70:71], s[54:55], v[172:173]
	s_delay_alu instid0(VALU_DEP_1) | instskip(NEXT) | instid1(VALU_DEP_1)
	v_fma_f64 v[98:99], v[126:127], s[28:29], v[70:71]
	v_add_f64_e32 v[78:79], v[98:99], v[78:79]
	v_fma_f64 v[98:99], v[152:153], s[28:29], -v[110:111]
	s_delay_alu instid0(VALU_DEP_1) | instskip(SKIP_2) | instid1(VALU_DEP_2)
	v_add_f64_e32 v[118:119], v[98:99], v[76:77]
	v_fma_f64 v[76:77], v[136:137], s[8:9], v[249:250]
	v_mul_f64_e32 v[98:99], s[48:49], v[174:175]
	v_add_f64_e32 v[76:77], v[76:77], v[78:79]
	s_delay_alu instid0(VALU_DEP_2) | instskip(NEXT) | instid1(VALU_DEP_1)
	v_fma_f64 v[78:79], v[158:159], s[8:9], -v[98:99]
	v_add_f64_e32 v[78:79], v[78:79], v[118:119]
	v_fma_f64 v[118:119], v[164:165], s[24:25], v[206:207]
	s_delay_alu instid0(VALU_DEP_1) | instskip(NEXT) | instid1(VALU_DEP_1)
	v_add_f64_e32 v[118:119], v[0:1], v[118:119]
	v_add_f64_e32 v[118:119], v[122:123], v[118:119]
	v_fma_f64 v[122:123], v[178:179], s[24:25], -v[208:209]
	s_delay_alu instid0(VALU_DEP_1) | instskip(NEXT) | instid1(VALU_DEP_1)
	v_add_f64_e32 v[122:123], v[2:3], v[122:123]
	v_add_f64_e32 v[128:129], v[128:129], v[122:123]
	v_fma_f64 v[122:123], v[72:73], s[8:9], v[241:242]
	s_delay_alu instid0(VALU_DEP_1) | instskip(SKIP_1) | instid1(VALU_DEP_1)
	v_add_f64_e32 v[118:119], v[122:123], v[118:119]
	v_mul_f64_e32 v[122:123], s[48:49], v[100:101]
	v_fma_f64 v[138:139], v[96:97], s[8:9], -v[122:123]
	s_delay_alu instid0(VALU_DEP_1) | instskip(SKIP_1) | instid1(VALU_DEP_1)
	v_add_f64_e32 v[128:129], v[138:139], v[128:129]
	v_fma_f64 v[138:139], v[92:93], s[16:17], v[243:244]
	v_add_f64_e32 v[118:119], v[138:139], v[118:119]
	v_fma_f64 v[138:139], v[108:109], s[16:17], -v[180:181]
	s_delay_alu instid0(VALU_DEP_1) | instskip(SKIP_1) | instid1(VALU_DEP_1)
	v_add_f64_e32 v[128:129], v[138:139], v[128:129]
	v_mul_f64_e32 v[138:139], s[38:39], v[124:125]
	v_fma_f64 v[148:149], v[104:105], s[34:35], v[138:139]
	s_delay_alu instid0(VALU_DEP_1) | instskip(SKIP_1) | instid1(VALU_DEP_1)
	v_add_f64_e32 v[118:119], v[148:149], v[118:119]
	v_fma_f64 v[148:149], v[120:121], s[34:35], -v[190:191]
	v_add_f64_e32 v[128:129], v[148:149], v[128:129]
	v_fma_f64 v[148:149], v[116:117], s[20:21], v[186:187]
	s_delay_alu instid0(VALU_DEP_1) | instskip(SKIP_1) | instid1(VALU_DEP_1)
	v_add_f64_e32 v[118:119], v[148:149], v[118:119]
	v_fma_f64 v[148:149], v[132:133], s[20:21], -v[192:193]
	v_add_f64_e32 v[148:149], v[148:149], v[128:129]
	v_mul_f64_e32 v[128:129], s[0:1], v[172:173]
	s_delay_alu instid0(VALU_DEP_1) | instskip(NEXT) | instid1(VALU_DEP_1)
	v_fma_f64 v[150:151], v[126:127], s[6:7], v[128:129]
	v_add_f64_e32 v[150:151], v[150:151], v[118:119]
	v_fma_f64 v[118:119], v[152:153], s[6:7], -v[184:185]
	s_delay_alu instid0(VALU_DEP_1) | instskip(SKIP_1) | instid1(VALU_DEP_1)
	v_add_f64_e32 v[210:211], v[118:119], v[148:149]
	v_mul_f64_e32 v[118:119], s[52:53], v[176:177]
	v_fma_f64 v[148:149], v[136:137], s[28:29], v[118:119]
	s_delay_alu instid0(VALU_DEP_1) | instskip(SKIP_1) | instid1(VALU_DEP_1)
	v_add_f64_e32 v[148:149], v[148:149], v[150:151]
	v_fma_f64 v[150:151], v[158:159], s[28:29], -v[166:167]
	v_add_f64_e32 v[150:151], v[150:151], v[210:211]
	s_and_saveexec_b32 s33, vcc_lo
	s_cbranch_execz .LBB0_7
; %bb.6:
	v_add_f64_e32 v[26:27], v[2:3], v[26:27]
	v_add_f64_e32 v[24:25], v[0:1], v[24:25]
	scratch_load_b64 v[210:211], off, off offset:212 th:TH_LOAD_LU ; 8-byte Folded Reload
	v_add_f64_e32 v[26:27], v[30:31], v[26:27]
	v_add_f64_e32 v[24:25], v[28:29], v[24:25]
	v_mul_f64_e32 v[28:29], s[16:17], v[178:179]
	v_mul_f64_e32 v[30:31], s[16:17], v[164:165]
	s_delay_alu instid0(VALU_DEP_4) | instskip(NEXT) | instid1(VALU_DEP_4)
	v_add_f64_e32 v[18:19], v[18:19], v[26:27]
	v_add_f64_e32 v[16:17], v[16:17], v[24:25]
	v_mul_f64_e32 v[24:25], s[20:21], v[178:179]
	v_mul_f64_e32 v[26:27], s[20:21], v[164:165]
	v_add_f64_e32 v[28:29], v[200:201], v[28:29]
	v_add_f64_e64 v[30:31], v[30:31], -v[198:199]
	v_mul_f64_e32 v[198:199], s[24:25], v[158:159]
	v_mul_f64_e32 v[200:201], s[26:27], v[176:177]
	v_add_f64_e32 v[18:19], v[22:23], v[18:19]
	v_add_f64_e32 v[16:17], v[20:21], v[16:17]
	;; [unrolled: 1-line block ×3, first 2 shown]
	scratch_load_b64 v[204:205], off, off offset:260 th:TH_LOAD_LU ; 8-byte Folded Reload
	v_mul_f64_e32 v[20:21], s[24:25], v[178:179]
	v_mul_f64_e32 v[22:23], s[24:25], v[164:165]
	v_add_f64_e64 v[26:27], v[26:27], -v[202:203]
	scratch_load_b64 v[202:203], off, off offset:276 th:TH_LOAD_LU ; 8-byte Folded Reload
	v_add_f64_e32 v[18:19], v[42:43], v[18:19]
	v_add_f64_e32 v[16:17], v[40:41], v[16:17]
	v_mul_f64_e32 v[40:41], s[40:41], v[168:169]
	v_mul_f64_e32 v[42:43], s[52:53], v[168:169]
	v_add_f64_e32 v[20:21], v[208:209], v[20:21]
	v_add_f64_e64 v[22:23], v[22:23], -v[206:207]
	v_add_f64_e32 v[26:27], v[0:1], v[26:27]
	v_add_f64_e32 v[24:25], v[2:3], v[24:25]
	s_clause 0x1
	scratch_load_b64 v[206:207], off, off offset:376 th:TH_LOAD_LU
	scratch_load_b64 v[208:209], off, off offset:296 th:TH_LOAD_LU
	v_add_f64_e32 v[18:19], v[46:47], v[18:19]
	v_add_f64_e32 v[16:17], v[44:45], v[16:17]
	v_fma_f64 v[46:47], v[164:165], s[30:31], v[40:41]
	v_fma_f64 v[40:41], v[164:165], s[30:31], -v[40:41]
	s_delay_alu instid0(VALU_DEP_4) | instskip(NEXT) | instid1(VALU_DEP_4)
	v_add_f64_e32 v[18:19], v[34:35], v[18:19]
	v_add_f64_e32 v[16:17], v[32:33], v[16:17]
	v_mul_f64_e32 v[34:35], s[8:9], v[164:165]
	v_mul_f64_e32 v[32:33], s[8:9], v[178:179]
	v_add_f64_e32 v[46:47], v[0:1], v[46:47]
	v_add_f64_e32 v[40:41], v[0:1], v[40:41]
	v_add_f64_e32 v[18:19], v[50:51], v[18:19]
	v_add_f64_e32 v[16:17], v[48:49], v[16:17]
	v_mul_f64_e32 v[50:51], s[6:7], v[164:165]
	v_add_f64_e64 v[34:35], v[34:35], -v[194:195]
	v_fma_f64 v[48:49], v[164:165], s[28:29], v[42:43]
	v_fma_f64 v[42:43], v[164:165], s[28:29], -v[42:43]
	v_add_f64_e32 v[32:33], v[196:197], v[32:33]
	v_mul_f64_e32 v[194:195], s[56:57], v[176:177]
	v_mul_f64_e32 v[196:197], s[48:49], v[172:173]
	v_add_f64_e32 v[18:19], v[54:55], v[18:19]
	v_add_f64_e32 v[16:17], v[52:53], v[16:17]
	scratch_load_b64 v[52:53], off, off offset:180 th:TH_LOAD_LU ; 8-byte Folded Reload
	v_add_f64_e32 v[48:49], v[0:1], v[48:49]
	v_add_f64_e32 v[42:43], v[0:1], v[42:43]
	v_add_f64_e32 v[18:19], v[62:63], v[18:19]
	v_add_f64_e32 v[16:17], v[60:61], v[16:17]
	v_add_f64_e32 v[60:61], v[0:1], v[22:23]
	v_add_f64_e32 v[22:23], v[0:1], v[30:31]
	s_delay_alu instid0(VALU_DEP_4) | instskip(NEXT) | instid1(VALU_DEP_4)
	v_add_f64_e32 v[18:19], v[58:59], v[18:19]
	v_add_f64_e32 v[16:17], v[56:57], v[16:17]
	;; [unrolled: 1-line block ×4, first 2 shown]
	v_mul_f64_e32 v[28:29], s[30:31], v[96:97]
	v_add_f64_e32 v[18:19], v[66:67], v[18:19]
	v_add_f64_e32 v[16:17], v[64:65], v[16:17]
	s_delay_alu instid0(VALU_DEP_3) | instskip(NEXT) | instid1(VALU_DEP_3)
	v_fma_f64 v[30:31], v[100:101], s[36:37], v[28:29]
	v_add_f64_e32 v[18:19], v[38:39], v[18:19]
	scratch_load_b64 v[38:39], off, off offset:196 th:TH_LOAD_LU ; 8-byte Folded Reload
	v_add_f64_e32 v[16:17], v[36:37], v[16:17]
	v_mul_f64_e32 v[36:37], s[6:7], v[178:179]
	v_add_f64_e32 v[14:15], v[14:15], v[18:19]
	s_delay_alu instid0(VALU_DEP_3) | instskip(SKIP_1) | instid1(VALU_DEP_3)
	v_add_f64_e32 v[12:13], v[12:13], v[16:17]
	v_mul_f64_e32 v[16:17], s[28:29], v[178:179]
	v_add_f64_e32 v[10:11], v[10:11], v[14:15]
	s_delay_alu instid0(VALU_DEP_3) | instskip(SKIP_1) | instid1(VALU_DEP_4)
	v_add_f64_e32 v[8:9], v[8:9], v[12:13]
	v_mul_f64_e32 v[12:13], s[30:31], v[178:179]
	v_fma_f64 v[18:19], v[182:183], s[54:55], v[16:17]
	v_fma_f64 v[16:17], v[182:183], s[52:53], v[16:17]
	v_add_f64_e32 v[6:7], v[6:7], v[10:11]
	v_add_f64_e32 v[4:5], v[4:5], v[8:9]
	v_mul_f64_e32 v[8:9], s[34:35], v[178:179]
	v_fma_f64 v[14:15], v[182:183], s[36:37], v[12:13]
	v_fma_f64 v[12:13], v[182:183], s[40:41], v[12:13]
	v_add_f64_e32 v[54:55], v[2:3], v[18:19]
	v_add_f64_e32 v[18:19], v[0:1], v[34:35]
	;; [unrolled: 1-line block ×4, first 2 shown]
	v_fma_f64 v[10:11], v[182:183], s[46:47], v[8:9]
	v_fma_f64 v[8:9], v[182:183], s[38:39], v[8:9]
	v_add_f64_e32 v[14:15], v[2:3], v[14:15]
	v_mul_f64_e32 v[182:183], s[20:21], v[158:159]
	s_wait_loadcnt 0x1
	v_add_f64_e64 v[50:51], v[50:51], -v[52:53]
	v_add_f64_e32 v[52:53], v[2:3], v[12:13]
	v_mul_f64_e32 v[12:13], s[6:7], v[80:81]
	v_add_f64_e32 v[10:11], v[2:3], v[10:11]
	v_add_f64_e32 v[8:9], v[2:3], v[8:9]
	;; [unrolled: 1-line block ×3, first 2 shown]
	s_wait_loadcnt 0x0
	v_add_f64_e32 v[36:37], v[38:39], v[36:37]
	v_mul_f64_e32 v[38:39], s[38:39], v[168:169]
	s_delay_alu instid0(VALU_DEP_2) | instskip(NEXT) | instid1(VALU_DEP_2)
	v_add_f64_e32 v[62:63], v[2:3], v[36:37]
	v_fma_f64 v[44:45], v[164:165], s[34:35], v[38:39]
	v_fma_f64 v[38:39], v[164:165], s[34:35], -v[38:39]
	s_delay_alu instid0(VALU_DEP_2) | instskip(NEXT) | instid1(VALU_DEP_2)
	v_add_f64_e32 v[44:45], v[0:1], v[44:45]
	v_add_f64_e32 v[38:39], v[0:1], v[38:39]
	v_fma_f64 v[0:1], v[88:89], s[0:1], v[12:13]
	v_fma_f64 v[12:13], v[88:89], s[42:43], v[12:13]
	s_delay_alu instid0(VALU_DEP_2) | instskip(SKIP_1) | instid1(VALU_DEP_3)
	v_add_f64_e32 v[0:1], v[0:1], v[10:11]
	v_mul_f64_e32 v[10:11], s[42:43], v[90:91]
	v_add_f64_e32 v[8:9], v[12:13], v[8:9]
	v_fma_f64 v[12:13], v[100:101], s[40:41], v[28:29]
	v_fma_f64 v[28:29], v[136:137], s[20:21], -v[194:195]
	v_add_f64_e32 v[0:1], v[30:31], v[0:1]
	v_fma_f64 v[2:3], v[68:69], s[6:7], v[10:11]
	v_mul_f64_e32 v[30:31], s[40:41], v[102:103]
	v_fma_f64 v[10:11], v[68:69], s[6:7], -v[10:11]
	v_add_f64_e32 v[8:9], v[12:13], v[8:9]
	s_delay_alu instid0(VALU_DEP_4) | instskip(NEXT) | instid1(VALU_DEP_4)
	v_add_f64_e32 v[2:3], v[2:3], v[44:45]
	v_fma_f64 v[32:33], v[72:73], s[30:31], v[30:31]
	s_delay_alu instid0(VALU_DEP_4)
	v_add_f64_e32 v[10:11], v[10:11], v[38:39]
	v_fma_f64 v[12:13], v[72:73], s[30:31], -v[30:31]
	v_mul_f64_e32 v[38:39], s[44:45], v[90:91]
	v_mul_f64_e32 v[30:31], s[30:31], v[120:121]
	v_add_f64_e32 v[2:3], v[32:33], v[2:3]
	v_mul_f64_e32 v[32:33], s[8:9], v[108:109]
	v_add_f64_e32 v[10:11], v[12:13], v[10:11]
	s_delay_alu instid0(VALU_DEP_2)
	v_fma_f64 v[34:35], v[114:115], s[10:11], v[32:33]
	v_fma_f64 v[12:13], v[114:115], s[48:49], v[32:33]
	scratch_load_b64 v[32:33], off, off offset:424 th:TH_LOAD_LU ; 8-byte Folded Reload
	v_add_f64_e32 v[0:1], v[34:35], v[0:1]
	v_mul_f64_e32 v[34:35], s[48:49], v[112:113]
	v_add_f64_e32 v[8:9], v[12:13], v[8:9]
	s_delay_alu instid0(VALU_DEP_2)
	v_fma_f64 v[36:37], v[92:93], s[8:9], v[34:35]
	v_fma_f64 v[12:13], v[92:93], s[8:9], -v[34:35]
	scratch_load_b64 v[34:35], off, off offset:344 th:TH_LOAD_LU ; 8-byte Folded Reload
	v_add_f64_e32 v[2:3], v[36:37], v[2:3]
	v_mul_f64_e32 v[36:37], s[28:29], v[120:121]
	v_add_f64_e32 v[10:11], v[12:13], v[10:11]
	s_delay_alu instid0(VALU_DEP_2) | instskip(SKIP_2) | instid1(VALU_DEP_3)
	v_fma_f64 v[44:45], v[130:131], s[54:55], v[36:37]
	v_fma_f64 v[12:13], v[130:131], s[52:53], v[36:37]
	v_mul_f64_e32 v[36:37], s[16:17], v[80:81]
	v_add_f64_e32 v[0:1], v[44:45], v[0:1]
	v_mul_f64_e32 v[44:45], s[52:53], v[124:125]
	s_delay_alu instid0(VALU_DEP_4) | instskip(NEXT) | instid1(VALU_DEP_2)
	v_add_f64_e32 v[8:9], v[12:13], v[8:9]
	v_fma_f64 v[64:65], v[104:105], s[28:29], v[44:45]
	v_fma_f64 v[12:13], v[104:105], s[28:29], -v[44:45]
	v_mul_f64_e32 v[44:45], s[20:21], v[96:97]
	s_delay_alu instid0(VALU_DEP_3) | instskip(SKIP_1) | instid1(VALU_DEP_4)
	v_add_f64_e32 v[2:3], v[64:65], v[2:3]
	v_mul_f64_e32 v[64:65], s[16:17], v[132:133]
	v_add_f64_e32 v[10:11], v[12:13], v[10:11]
	s_delay_alu instid0(VALU_DEP_2)
	v_fma_f64 v[66:67], v[156:157], s[18:19], v[64:65]
	v_fma_f64 v[12:13], v[156:157], s[44:45], v[64:65]
	v_mul_f64_e32 v[64:65], s[28:29], v[108:109]
	s_wait_loadcnt 0x1
	v_add_f64_e32 v[30:31], v[32:33], v[30:31]
	v_mul_f64_e32 v[32:33], s[34:35], v[108:109]
	v_add_f64_e32 v[0:1], v[66:67], v[0:1]
	v_mul_f64_e32 v[66:67], s[44:45], v[162:163]
	v_add_f64_e32 v[8:9], v[12:13], v[8:9]
	s_delay_alu instid0(VALU_DEP_2)
	v_fma_f64 v[164:165], v[116:117], s[16:17], v[66:67]
	v_fma_f64 v[12:13], v[116:117], s[16:17], -v[66:67]
	v_mul_f64_e32 v[66:67], s[54:55], v[112:113]
	s_wait_loadcnt 0x0
	v_add_f64_e32 v[32:33], v[34:35], v[32:33]
	v_mul_f64_e32 v[34:35], s[28:29], v[96:97]
	v_add_f64_e32 v[2:3], v[164:165], v[2:3]
	v_mul_f64_e32 v[164:165], s[24:25], v[152:153]
	v_add_f64_e32 v[10:11], v[12:13], v[10:11]
	s_delay_alu instid0(VALU_DEP_4) | instskip(SKIP_1) | instid1(VALU_DEP_4)
	v_add_f64_e32 v[34:35], v[202:203], v[34:35]
	v_mul_f64_e32 v[202:203], s[20:21], v[80:81]
	v_fma_f64 v[168:169], v[170:171], s[50:51], v[164:165]
	v_fma_f64 v[12:13], v[170:171], s[26:27], v[164:165]
	v_mul_f64_e32 v[164:165], s[6:7], v[120:121]
	s_delay_alu instid0(VALU_DEP_4)
	v_add_f64_e32 v[202:203], v[204:205], v[202:203]
	v_mul_f64_e32 v[204:205], s[24:25], v[116:117]
	v_add_f64_e32 v[0:1], v[168:169], v[0:1]
	v_mul_f64_e32 v[168:169], s[26:27], v[172:173]
	v_add_f64_e32 v[8:9], v[12:13], v[8:9]
	v_add_f64_e32 v[16:17], v[202:203], v[16:17]
	v_add_f64_e64 v[204:205], v[204:205], -v[206:207]
	v_mul_f64_e32 v[206:207], s[30:31], v[104:105]
	v_mul_f64_e32 v[202:203], s[34:35], v[92:93]
	v_fma_f64 v[12:13], v[126:127], s[24:25], -v[168:169]
	v_fma_f64 v[178:179], v[126:127], s[24:25], v[168:169]
	v_mul_f64_e32 v[168:169], s[0:1], v[124:125]
	v_add_f64_e32 v[16:17], v[34:35], v[16:17]
	v_mul_f64_e32 v[34:35], s[16:17], v[152:153]
	v_add_f64_e64 v[206:207], v[206:207], -v[208:209]
	v_mul_f64_e32 v[208:209], s[20:21], v[68:69]
	v_add_f64_e32 v[12:13], v[12:13], v[10:11]
	v_fma_f64 v[10:11], v[174:175], s[56:57], v[182:183]
	v_add_f64_e32 v[178:179], v[178:179], v[2:3]
	v_fma_f64 v[2:3], v[174:175], s[22:23], v[182:183]
	v_mul_f64_e32 v[182:183], s[38:39], v[162:163]
	v_add_f64_e32 v[16:17], v[32:33], v[16:17]
	v_mul_f64_e32 v[32:33], s[16:17], v[126:127]
	v_add_f64_e32 v[34:35], v[212:213], v[34:35]
	v_add_f64_e64 v[208:209], v[208:209], -v[210:211]
	v_mul_f64_e32 v[210:211], s[28:29], v[72:73]
	v_add_f64_e32 v[10:11], v[10:11], v[8:9]
	v_add_f64_e32 v[8:9], v[28:29], v[12:13]
	v_fma_f64 v[12:13], v[88:89], s[18:19], v[36:37]
	v_fma_f64 v[28:29], v[100:101], s[56:57], v[44:45]
	v_add_f64_e32 v[2:3], v[2:3], v[0:1]
	v_fma_f64 v[0:1], v[136:137], s[20:21], v[194:195]
	v_mul_f64_e32 v[194:195], s[8:9], v[152:153]
	v_fma_f64 v[36:37], v[88:89], s[44:45], v[36:37]
	v_add_f64_e32 v[16:17], v[30:31], v[16:17]
	v_mul_f64_e32 v[30:31], s[6:7], v[158:159]
	v_add_f64_e32 v[18:19], v[208:209], v[18:19]
	scratch_load_b64 v[208:209], off, off offset:244 th:TH_LOAD_LU ; 8-byte Folded Reload
	v_add_f64_e32 v[12:13], v[12:13], v[14:15]
	v_fma_f64 v[14:15], v[68:69], s[16:17], v[38:39]
	v_fma_f64 v[38:39], v[68:69], s[16:17], -v[38:39]
	v_add_f64_e32 v[0:1], v[0:1], v[178:179]
	v_mul_f64_e32 v[178:179], s[34:35], v[132:133]
	v_add_f64_e32 v[36:37], v[36:37], v[52:53]
	v_add_f64_e32 v[30:31], v[218:219], v[30:31]
	;; [unrolled: 1-line block ×4, first 2 shown]
	v_mul_f64_e32 v[46:47], s[22:23], v[102:103]
	v_add_f64_e32 v[38:39], v[38:39], v[40:41]
	v_fma_f64 v[40:41], v[100:101], s[22:23], v[44:45]
	v_fma_f64 v[44:45], v[136:137], s[24:25], -v[200:201]
	s_delay_alu instid0(VALU_DEP_4) | instskip(NEXT) | instid1(VALU_DEP_3)
	v_fma_f64 v[28:29], v[72:73], s[20:21], v[46:47]
	v_add_f64_e32 v[36:37], v[40:41], v[36:37]
	v_fma_f64 v[40:41], v[72:73], s[20:21], -v[46:47]
	s_delay_alu instid0(VALU_DEP_3) | instskip(SKIP_1) | instid1(VALU_DEP_3)
	v_add_f64_e32 v[14:15], v[28:29], v[14:15]
	v_fma_f64 v[28:29], v[114:115], s[52:53], v[64:65]
	v_add_f64_e32 v[38:39], v[40:41], v[38:39]
	v_fma_f64 v[40:41], v[114:115], s[54:55], v[64:65]
	s_delay_alu instid0(VALU_DEP_3) | instskip(SKIP_1) | instid1(VALU_DEP_3)
	v_add_f64_e32 v[12:13], v[28:29], v[12:13]
	v_fma_f64 v[28:29], v[92:93], s[28:29], v[66:67]
	v_add_f64_e32 v[36:37], v[40:41], v[36:37]
	v_fma_f64 v[40:41], v[92:93], s[28:29], -v[66:67]
	scratch_load_b64 v[66:67], off, off offset:28 th:TH_LOAD_LU ; 8-byte Folded Reload
	v_add_f64_e32 v[14:15], v[28:29], v[14:15]
	v_fma_f64 v[28:29], v[130:131], s[42:43], v[164:165]
	v_add_f64_e32 v[38:39], v[40:41], v[38:39]
	v_fma_f64 v[40:41], v[130:131], s[0:1], v[164:165]
	s_delay_alu instid0(VALU_DEP_3) | instskip(SKIP_1) | instid1(VALU_DEP_3)
	v_add_f64_e32 v[12:13], v[28:29], v[12:13]
	v_fma_f64 v[28:29], v[104:105], s[6:7], v[168:169]
	v_add_f64_e32 v[36:37], v[40:41], v[36:37]
	v_fma_f64 v[40:41], v[104:105], s[6:7], -v[168:169]
	s_delay_alu instid0(VALU_DEP_3) | instskip(SKIP_1) | instid1(VALU_DEP_3)
	v_add_f64_e32 v[14:15], v[28:29], v[14:15]
	v_fma_f64 v[28:29], v[156:157], s[46:47], v[178:179]
	v_add_f64_e32 v[38:39], v[40:41], v[38:39]
	v_fma_f64 v[40:41], v[156:157], s[38:39], v[178:179]
	s_wait_loadcnt 0x1
	v_add_f64_e64 v[202:203], v[202:203], -v[208:209]
	s_delay_alu instid0(VALU_DEP_4) | instskip(SKIP_1) | instid1(VALU_DEP_4)
	v_add_f64_e32 v[12:13], v[28:29], v[12:13]
	v_fma_f64 v[28:29], v[116:117], s[34:35], v[182:183]
	v_add_f64_e32 v[36:37], v[40:41], v[36:37]
	v_fma_f64 v[40:41], v[116:117], s[34:35], -v[182:183]
	s_delay_alu instid0(VALU_DEP_3) | instskip(SKIP_1) | instid1(VALU_DEP_3)
	v_add_f64_e32 v[14:15], v[28:29], v[14:15]
	v_fma_f64 v[28:29], v[170:171], s[10:11], v[194:195]
	v_add_f64_e32 v[38:39], v[40:41], v[38:39]
	v_fma_f64 v[40:41], v[170:171], s[48:49], v[194:195]
	s_delay_alu instid0(VALU_DEP_3) | instskip(SKIP_1) | instid1(VALU_DEP_3)
	v_add_f64_e32 v[12:13], v[28:29], v[12:13]
	v_fma_f64 v[28:29], v[126:127], s[8:9], v[196:197]
	v_add_f64_e32 v[36:37], v[40:41], v[36:37]
	v_fma_f64 v[40:41], v[126:127], s[8:9], -v[196:197]
	s_delay_alu instid0(VALU_DEP_3) | instskip(SKIP_1) | instid1(VALU_DEP_3)
	v_add_f64_e32 v[28:29], v[28:29], v[14:15]
	v_fma_f64 v[14:15], v[174:175], s[50:51], v[198:199]
	v_add_f64_e32 v[40:41], v[40:41], v[38:39]
	v_fma_f64 v[38:39], v[174:175], s[26:27], v[198:199]
	s_delay_alu instid0(VALU_DEP_3) | instskip(SKIP_1) | instid1(VALU_DEP_3)
	v_add_f64_e32 v[14:15], v[14:15], v[12:13]
	v_fma_f64 v[12:13], v[136:137], s[24:25], v[200:201]
	v_add_f64_e32 v[38:39], v[38:39], v[36:37]
	v_add_f64_e32 v[36:37], v[44:45], v[40:41]
	s_delay_alu instid0(VALU_DEP_3) | instskip(SKIP_1) | instid1(VALU_DEP_1)
	v_add_f64_e32 v[12:13], v[12:13], v[28:29]
	v_mul_f64_e32 v[28:29], s[24:25], v[132:133]
	v_add_f64_e32 v[28:29], v[220:221], v[28:29]
	scratch_load_b64 v[220:221], off, off offset:228 th:TH_LOAD_LU ; 8-byte Folded Reload
	v_add_f64_e32 v[16:17], v[28:29], v[16:17]
	v_mul_f64_e32 v[28:29], s[6:7], v[136:137]
	s_delay_alu instid0(VALU_DEP_2) | instskip(SKIP_1) | instid1(VALU_DEP_1)
	v_add_f64_e32 v[16:17], v[34:35], v[16:17]
	v_mul_f64_e32 v[34:35], s[34:35], v[96:97]
	v_add_f64_e32 v[34:35], v[222:223], v[34:35]
	s_wait_loadcnt 0x0
	v_add_f64_e64 v[210:211], v[210:211], -v[220:221]
	s_delay_alu instid0(VALU_DEP_1) | instskip(NEXT) | instid1(VALU_DEP_1)
	v_add_f64_e32 v[18:19], v[210:211], v[18:19]
	v_add_f64_e32 v[18:19], v[202:203], v[18:19]
	scratch_load_b64 v[202:203], off, off offset:312 th:TH_LOAD_LU ; 8-byte Folded Reload
	v_add_f64_e32 v[18:19], v[206:207], v[18:19]
	scratch_load_b64 v[206:207], off, off offset:392 th:TH_LOAD_LU ; 8-byte Folded Reload
	;; [unrolled: 2-line block ×3, first 2 shown]
	s_wait_loadcnt 0x2
	v_add_f64_e64 v[32:33], v[32:33], -v[202:203]
	scratch_load_b64 v[202:203], off, off offset:360 th:TH_LOAD_LU ; 8-byte Folded Reload
	v_add_f64_e32 v[32:33], v[32:33], v[18:19]
	v_add_f64_e32 v[18:19], v[30:31], v[16:17]
	v_mul_f64_e32 v[30:31], s[8:9], v[120:121]
	s_delay_alu instid0(VALU_DEP_1) | instskip(SKIP_1) | instid1(VALU_DEP_1)
	v_add_f64_e32 v[30:31], v[94:95], v[30:31]
	v_mul_f64_e32 v[94:95], s[28:29], v[80:81]
	v_add_f64_e32 v[94:95], v[214:215], v[94:95]
	s_delay_alu instid0(VALU_DEP_1) | instskip(SKIP_1) | instid1(VALU_DEP_2)
	v_add_f64_e32 v[20:21], v[94:95], v[20:21]
	v_mul_f64_e32 v[94:95], s[24:25], v[92:93]
	v_add_f64_e32 v[20:21], v[34:35], v[20:21]
	v_mul_f64_e32 v[34:35], s[20:21], v[152:153]
	s_delay_alu instid0(VALU_DEP_1) | instskip(SKIP_3) | instid1(VALU_DEP_2)
	v_add_f64_e32 v[34:35], v[247:248], v[34:35]
	s_wait_loadcnt 0x0
	v_add_f64_e64 v[28:29], v[28:29], -v[202:203]
	v_mul_f64_e32 v[202:203], s[28:29], v[68:69]
	v_add_f64_e32 v[16:17], v[28:29], v[32:33]
	s_delay_alu instid0(VALU_DEP_2) | instskip(SKIP_3) | instid1(VALU_DEP_4)
	v_add_f64_e64 v[202:203], v[202:203], -v[204:205]
	v_mul_f64_e32 v[28:29], s[6:7], v[132:133]
	v_mul_f64_e32 v[204:205], s[34:35], v[72:73]
	;; [unrolled: 1-line block ×3, first 2 shown]
	v_add_f64_e32 v[22:23], v[202:203], v[22:23]
	scratch_load_b64 v[202:203], off, off offset:408 th:TH_LOAD_LU ; 8-byte Folded Reload
	v_add_f64_e32 v[28:29], v[160:161], v[28:29]
	v_mul_f64_e32 v[160:161], s[6:7], v[116:117]
	v_add_f64_e64 v[204:205], v[204:205], -v[206:207]
	v_add_f64_e32 v[32:33], v[238:239], v[32:33]
	s_delay_alu instid0(VALU_DEP_3) | instskip(SKIP_1) | instid1(VALU_DEP_4)
	v_add_f64_e64 v[74:75], v[160:161], -v[74:75]
	v_mul_f64_e32 v[160:161], s[8:9], v[104:105]
	v_add_f64_e32 v[22:23], v[204:205], v[22:23]
	s_delay_alu instid0(VALU_DEP_4) | instskip(SKIP_1) | instid1(VALU_DEP_4)
	v_add_f64_e32 v[20:21], v[32:33], v[20:21]
	v_mul_f64_e32 v[32:33], s[20:21], v[126:127]
	v_add_f64_e64 v[160:161], v[160:161], -v[234:235]
	s_delay_alu instid0(VALU_DEP_3) | instskip(NEXT) | instid1(VALU_DEP_3)
	v_add_f64_e32 v[20:21], v[30:31], v[20:21]
	v_add_f64_e64 v[32:33], v[32:33], -v[236:237]
	v_mul_f64_e32 v[30:31], s[30:31], v[158:159]
	s_delay_alu instid0(VALU_DEP_3) | instskip(SKIP_1) | instid1(VALU_DEP_3)
	v_add_f64_e32 v[20:21], v[28:29], v[20:21]
	v_mul_f64_e32 v[28:29], s[30:31], v[136:137]
	v_add_f64_e32 v[30:31], v[245:246], v[30:31]
	s_delay_alu instid0(VALU_DEP_3) | instskip(NEXT) | instid1(VALU_DEP_3)
	v_add_f64_e32 v[20:21], v[34:35], v[20:21]
	v_add_f64_e64 v[28:29], v[28:29], -v[230:231]
	v_mul_f64_e32 v[34:35], s[24:25], v[96:97]
	s_delay_alu instid0(VALU_DEP_1) | instskip(SKIP_2) | instid1(VALU_DEP_1)
	v_add_f64_e32 v[34:35], v[251:252], v[34:35]
	s_wait_loadcnt 0x0
	v_add_f64_e64 v[94:95], v[94:95], -v[202:203]
	v_add_f64_e32 v[22:23], v[94:95], v[22:23]
	v_mul_f64_e32 v[94:95], s[30:31], v[116:117]
	s_delay_alu instid0(VALU_DEP_2) | instskip(NEXT) | instid1(VALU_DEP_2)
	v_add_f64_e32 v[22:23], v[160:161], v[22:23]
	v_add_f64_e64 v[94:95], v[94:95], -v[134:135]
	v_mul_f64_e32 v[134:135], s[24:25], v[72:73]
	s_delay_alu instid0(VALU_DEP_3) | instskip(SKIP_1) | instid1(VALU_DEP_3)
	v_add_f64_e32 v[22:23], v[74:75], v[22:23]
	v_mul_f64_e32 v[74:75], s[34:35], v[80:81]
	v_add_f64_e64 v[134:135], v[134:135], -v[224:225]
	s_delay_alu instid0(VALU_DEP_3) | instskip(SKIP_1) | instid1(VALU_DEP_4)
	v_add_f64_e32 v[32:33], v[32:33], v[22:23]
	v_add_f64_e32 v[22:23], v[30:31], v[20:21]
	v_add_f64_e32 v[74:75], v[232:233], v[74:75]
	v_mul_f64_e32 v[30:31], s[16:17], v[120:121]
	s_delay_alu instid0(VALU_DEP_4) | instskip(SKIP_1) | instid1(VALU_DEP_4)
	v_add_f64_e32 v[20:21], v[28:29], v[32:33]
	v_mul_f64_e32 v[32:33], s[6:7], v[108:109]
	v_add_f64_e32 v[24:25], v[74:75], v[24:25]
	v_mul_f64_e32 v[74:75], s[6:7], v[92:93]
	v_mul_f64_e32 v[28:29], s[30:31], v[132:133]
	v_add_f64_e32 v[30:31], v[154:155], v[30:31]
	v_add_f64_e32 v[32:33], v[106:107], v[32:33]
	v_mul_f64_e32 v[106:107], s[16:17], v[104:105]
	v_add_f64_e64 v[74:75], v[74:75], -v[228:229]
	v_add_f64_e32 v[24:25], v[34:35], v[24:25]
	v_add_f64_e32 v[28:29], v[188:189], v[28:29]
	v_mul_f64_e32 v[34:35], s[28:29], v[152:153]
	v_add_f64_e64 v[82:83], v[106:107], -v[82:83]
	v_mul_f64_e32 v[106:107], s[34:35], v[68:69]
	v_add_f64_e32 v[24:25], v[32:33], v[24:25]
	v_mul_f64_e32 v[32:33], s[28:29], v[126:127]
	v_add_f64_e32 v[34:35], v[110:111], v[34:35]
	s_delay_alu instid0(VALU_DEP_4) | instskip(NEXT) | instid1(VALU_DEP_4)
	v_add_f64_e64 v[106:107], v[106:107], -v[216:217]
	v_add_f64_e32 v[24:25], v[30:31], v[24:25]
	s_delay_alu instid0(VALU_DEP_4)
	v_add_f64_e64 v[32:33], v[32:33], -v[70:71]
	v_mul_f64_e32 v[30:31], s[8:9], v[158:159]
	v_mul_f64_e32 v[70:71], s[30:31], v[80:81]
	v_add_f64_e32 v[26:27], v[106:107], v[26:27]
	v_add_f64_e32 v[24:25], v[28:29], v[24:25]
	v_mul_f64_e32 v[28:29], s[8:9], v[136:137]
	v_add_f64_e32 v[30:31], v[98:99], v[30:31]
	v_add_f64_e32 v[70:71], v[253:254], v[70:71]
	;; [unrolled: 3-line block ×3, first 2 shown]
	v_add_f64_e64 v[28:29], v[28:29], -v[249:250]
	v_mul_f64_e32 v[34:35], s[8:9], v[96:97]
	v_add_f64_e32 v[58:59], v[70:71], v[58:59]
	v_add_f64_e64 v[98:99], v[98:99], -v[241:242]
	v_mul_f64_e32 v[70:71], s[16:17], v[92:93]
	v_add_f64_e32 v[26:27], v[74:75], v[26:27]
	v_mul_f64_e32 v[74:75], s[20:21], v[116:117]
	v_add_f64_e32 v[34:35], v[122:123], v[34:35]
	s_delay_alu instid0(VALU_DEP_4) | instskip(NEXT) | instid1(VALU_DEP_4)
	v_add_f64_e64 v[70:71], v[70:71], -v[243:244]
	v_add_f64_e32 v[26:27], v[82:83], v[26:27]
	v_mul_f64_e32 v[82:83], s[34:35], v[104:105]
	v_add_f64_e64 v[74:75], v[74:75], -v[186:187]
	v_add_f64_e32 v[34:35], v[34:35], v[58:59]
	s_delay_alu instid0(VALU_DEP_4) | instskip(SKIP_2) | instid1(VALU_DEP_3)
	v_add_f64_e32 v[26:27], v[94:95], v[26:27]
	v_mul_f64_e32 v[94:95], s[30:31], v[68:69]
	v_add_f64_e64 v[82:83], v[82:83], -v[138:139]
	v_add_f64_e32 v[32:33], v[32:33], v[26:27]
	s_delay_alu instid0(VALU_DEP_3) | instskip(SKIP_2) | instid1(VALU_DEP_4)
	v_add_f64_e64 v[94:95], v[94:95], -v[226:227]
	v_add_f64_e32 v[26:27], v[30:31], v[24:25]
	v_mul_f64_e32 v[30:31], s[34:35], v[120:121]
	v_add_f64_e32 v[24:25], v[28:29], v[32:33]
	v_mul_f64_e32 v[32:33], s[16:17], v[108:109]
	;; [unrolled: 2-line block ×3, first 2 shown]
	v_add_f64_e32 v[30:31], v[190:191], v[30:31]
	s_delay_alu instid0(VALU_DEP_4) | instskip(NEXT) | instid1(VALU_DEP_4)
	v_add_f64_e32 v[32:33], v[180:181], v[32:33]
	v_add_f64_e32 v[58:59], v[98:99], v[60:61]
	s_delay_alu instid0(VALU_DEP_4) | instskip(SKIP_1) | instid1(VALU_DEP_4)
	v_add_f64_e32 v[28:29], v[192:193], v[28:29]
	v_mul_f64_e32 v[60:61], s[6:7], v[152:153]
	v_add_f64_e32 v[32:33], v[32:33], v[34:35]
	s_delay_alu instid0(VALU_DEP_4) | instskip(SKIP_1) | instid1(VALU_DEP_4)
	v_add_f64_e32 v[34:35], v[70:71], v[58:59]
	v_mul_f64_e32 v[58:59], s[6:7], v[126:127]
	v_add_f64_e32 v[60:61], v[184:185], v[60:61]
	s_delay_alu instid0(VALU_DEP_4) | instskip(NEXT) | instid1(VALU_DEP_4)
	v_add_f64_e32 v[30:31], v[30:31], v[32:33]
	v_add_f64_e32 v[32:33], v[82:83], v[34:35]
	s_delay_alu instid0(VALU_DEP_4) | instskip(SKIP_1) | instid1(VALU_DEP_4)
	v_add_f64_e64 v[58:59], v[58:59], -v[128:129]
	v_mul_f64_e32 v[34:35], s[28:29], v[158:159]
	v_add_f64_e32 v[28:29], v[28:29], v[30:31]
	s_delay_alu instid0(VALU_DEP_4) | instskip(SKIP_1) | instid1(VALU_DEP_4)
	v_add_f64_e32 v[30:31], v[74:75], v[32:33]
	v_mul_f64_e32 v[32:33], s[28:29], v[136:137]
	v_add_f64_e32 v[34:35], v[166:167], v[34:35]
	s_delay_alu instid0(VALU_DEP_4) | instskip(NEXT) | instid1(VALU_DEP_4)
	v_add_f64_e32 v[28:29], v[60:61], v[28:29]
	v_add_f64_e32 v[58:59], v[58:59], v[30:31]
	s_delay_alu instid0(VALU_DEP_4) | instskip(SKIP_1) | instid1(VALU_DEP_4)
	v_add_f64_e64 v[32:33], v[32:33], -v[118:119]
	v_mul_f64_e32 v[118:119], s[16:17], v[158:159]
	v_add_f64_e32 v[30:31], v[34:35], v[28:29]
	s_delay_alu instid0(VALU_DEP_3) | instskip(SKIP_1) | instid1(VALU_DEP_4)
	v_add_f64_e32 v[28:29], v[32:33], v[58:59]
	v_mul_f64_e32 v[58:59], s[24:25], v[80:81]
	v_fma_f64 v[64:65], v[174:175], s[18:19], v[118:119]
	s_delay_alu instid0(VALU_DEP_2) | instskip(SKIP_1) | instid1(VALU_DEP_2)
	v_fma_f64 v[32:33], v[88:89], s[50:51], v[58:59]
	v_fma_f64 v[40:41], v[88:89], s[26:27], v[58:59]
	v_add_f64_e32 v[32:33], v[32:33], v[56:57]
	v_mul_f64_e32 v[56:57], s[50:51], v[90:91]
	s_delay_alu instid0(VALU_DEP_3) | instskip(NEXT) | instid1(VALU_DEP_2)
	v_add_f64_e32 v[40:41], v[40:41], v[54:55]
	v_fma_f64 v[34:35], v[68:69], s[24:25], -v[56:57]
	v_fma_f64 v[54:55], v[68:69], s[24:25], v[56:57]
	scratch_load_b64 v[56:57], off, off offset:44 th:TH_LOAD_LU ; 8-byte Folded Reload
	v_add_f64_e32 v[34:35], v[34:35], v[42:43]
	v_mul_f64_e32 v[42:43], s[6:7], v[96:97]
	v_add_f64_e32 v[48:49], v[54:55], v[48:49]
	scratch_load_b64 v[54:55], off, off offset:76 th:TH_LOAD_LU ; 8-byte Folded Reload
	v_fma_f64 v[60:61], v[100:101], s[0:1], v[42:43]
	v_fma_f64 v[42:43], v[100:101], s[42:43], v[42:43]
	s_delay_alu instid0(VALU_DEP_2) | instskip(SKIP_1) | instid1(VALU_DEP_3)
	v_add_f64_e32 v[32:33], v[60:61], v[32:33]
	v_mul_f64_e32 v[60:61], s[0:1], v[102:103]
	v_add_f64_e32 v[40:41], v[42:43], v[40:41]
	s_delay_alu instid0(VALU_DEP_2) | instskip(SKIP_1) | instid1(VALU_DEP_2)
	v_fma_f64 v[70:71], v[72:73], s[6:7], -v[60:61]
	v_fma_f64 v[42:43], v[72:73], s[6:7], v[60:61]
	v_add_f64_e32 v[34:35], v[70:71], v[34:35]
	v_mul_f64_e32 v[70:71], s[30:31], v[108:109]
	s_delay_alu instid0(VALU_DEP_3) | instskip(NEXT) | instid1(VALU_DEP_2)
	v_add_f64_e32 v[42:43], v[42:43], v[48:49]
	v_fma_f64 v[74:75], v[114:115], s[40:41], v[70:71]
	v_fma_f64 v[58:59], v[114:115], s[36:37], v[70:71]
	s_delay_alu instid0(VALU_DEP_2) | instskip(SKIP_1) | instid1(VALU_DEP_3)
	v_add_f64_e32 v[32:33], v[74:75], v[32:33]
	v_mul_f64_e32 v[74:75], s[40:41], v[112:113]
	v_add_f64_e32 v[40:41], v[58:59], v[40:41]
	v_mul_f64_e32 v[112:113], s[44:45], v[176:177]
	s_clause 0x1
	scratch_load_b64 v[58:59], off, off offset:116 th:TH_LOAD_LU
	scratch_load_b64 v[60:61], off, off offset:92 th:TH_LOAD_LU
	v_fma_f64 v[82:83], v[92:93], s[30:31], -v[74:75]
	v_fma_f64 v[48:49], v[92:93], s[30:31], v[74:75]
	s_delay_alu instid0(VALU_DEP_2) | instskip(SKIP_1) | instid1(VALU_DEP_3)
	v_add_f64_e32 v[34:35], v[82:83], v[34:35]
	v_mul_f64_e32 v[82:83], s[20:21], v[120:121]
	v_add_f64_e32 v[42:43], v[48:49], v[42:43]
	s_delay_alu instid0(VALU_DEP_2) | instskip(SKIP_1) | instid1(VALU_DEP_2)
	v_fma_f64 v[90:91], v[130:131], s[56:57], v[82:83]
	v_fma_f64 v[52:53], v[130:131], s[22:23], v[82:83]
	v_add_f64_e32 v[32:33], v[90:91], v[32:33]
	v_mul_f64_e32 v[90:91], s[56:57], v[124:125]
	s_delay_alu instid0(VALU_DEP_3) | instskip(SKIP_3) | instid1(VALU_DEP_2)
	v_add_f64_e32 v[40:41], v[52:53], v[40:41]
	scratch_load_b64 v[52:53], off, off offset:108 th:TH_LOAD_LU ; 8-byte Folded Reload
	v_fma_f64 v[94:95], v[104:105], s[20:21], -v[90:91]
	v_fma_f64 v[48:49], v[104:105], s[20:21], v[90:91]
	v_add_f64_e32 v[34:35], v[94:95], v[34:35]
	v_mul_f64_e32 v[94:95], s[8:9], v[132:133]
	s_delay_alu instid0(VALU_DEP_3) | instskip(SKIP_3) | instid1(VALU_DEP_2)
	v_add_f64_e32 v[42:43], v[48:49], v[42:43]
	scratch_load_b64 v[48:49], off, off offset:124 th:TH_LOAD_LU ; 8-byte Folded Reload
	v_fma_f64 v[98:99], v[156:157], s[10:11], v[94:95]
	v_fma_f64 v[46:47], v[156:157], s[48:49], v[94:95]
	v_add_f64_e32 v[32:33], v[98:99], v[32:33]
	v_mul_f64_e32 v[98:99], s[10:11], v[162:163]
	s_delay_alu instid0(VALU_DEP_3) | instskip(NEXT) | instid1(VALU_DEP_2)
	v_add_f64_e32 v[40:41], v[46:47], v[40:41]
	v_fma_f64 v[102:103], v[116:117], s[8:9], -v[98:99]
	v_fma_f64 v[46:47], v[116:117], s[8:9], v[98:99]
	s_delay_alu instid0(VALU_DEP_2) | instskip(SKIP_1) | instid1(VALU_DEP_3)
	v_add_f64_e32 v[34:35], v[102:103], v[34:35]
	v_mul_f64_e32 v[102:103], s[34:35], v[152:153]
	v_add_f64_e32 v[42:43], v[46:47], v[42:43]
	v_fma_f64 v[46:47], v[136:137], s[16:17], v[112:113]
	s_delay_alu instid0(VALU_DEP_3) | instskip(SKIP_1) | instid1(VALU_DEP_2)
	v_fma_f64 v[106:107], v[170:171], s[38:39], v[102:103]
	v_fma_f64 v[44:45], v[170:171], s[46:47], v[102:103]
	v_add_f64_e32 v[32:33], v[106:107], v[32:33]
	v_mul_f64_e32 v[106:107], s[38:39], v[172:173]
	s_delay_alu instid0(VALU_DEP_3) | instskip(NEXT) | instid1(VALU_DEP_2)
	v_add_f64_e32 v[40:41], v[44:45], v[40:41]
	v_fma_f64 v[44:45], v[126:127], s[34:35], v[106:107]
	v_fma_f64 v[110:111], v[126:127], s[34:35], -v[106:107]
	s_delay_alu instid0(VALU_DEP_2) | instskip(NEXT) | instid1(VALU_DEP_4)
	v_add_f64_e32 v[44:45], v[44:45], v[42:43]
	v_add_f64_e32 v[42:43], v[64:65], v[40:41]
	scratch_load_b64 v[64:65], off, off offset:12 th:TH_LOAD_LU ; 8-byte Folded Reload
	v_add_f64_e32 v[110:111], v[110:111], v[34:35]
	v_fma_f64 v[34:35], v[174:175], s[44:45], v[118:119]
	v_add_f64_e32 v[40:41], v[46:47], v[44:45]
	scratch_load_b64 v[46:47], off, off offset:140 th:TH_LOAD_LU ; 8-byte Folded Reload
	v_mul_f64_e32 v[44:45], s[28:29], v[132:133]
	v_add_f64_e32 v[34:35], v[34:35], v[32:33]
	v_fma_f64 v[32:33], v[136:137], s[16:17], -v[112:113]
	s_delay_alu instid0(VALU_DEP_1) | instskip(SKIP_1) | instid1(VALU_DEP_4)
	v_add_f64_e32 v[32:33], v[32:33], v[110:111]
	s_wait_loadcnt 0x0
	v_add_f64_e32 v[44:45], v[46:47], v[44:45]
	v_mul_f64_e32 v[46:47], s[24:25], v[120:121]
	s_delay_alu instid0(VALU_DEP_1) | instskip(SKIP_1) | instid1(VALU_DEP_1)
	v_add_f64_e32 v[46:47], v[48:49], v[46:47]
	v_mul_f64_e32 v[48:49], s[20:21], v[108:109]
	v_add_f64_e32 v[48:49], v[52:53], v[48:49]
	v_mul_f64_e32 v[52:53], s[16:17], v[96:97]
	s_delay_alu instid0(VALU_DEP_1) | instskip(SKIP_1) | instid1(VALU_DEP_1)
	v_add_f64_e32 v[52:53], v[54:55], v[52:53]
	v_mul_f64_e32 v[54:55], s[8:9], v[80:81]
	v_add_f64_e32 v[54:55], v[56:57], v[54:55]
	v_mul_f64_e32 v[56:57], s[28:29], v[116:117]
	s_delay_alu instid0(VALU_DEP_2)
	v_add_f64_e32 v[54:55], v[54:55], v[62:63]
	scratch_load_b64 v[62:63], off, off offset:60 th:TH_LOAD_LU ; 8-byte Folded Reload
	v_add_f64_e64 v[56:57], v[56:57], -v[58:59]
	v_mul_f64_e32 v[58:59], s[24:25], v[104:105]
	v_add_f64_e32 v[52:53], v[52:53], v[54:55]
	v_mul_f64_e32 v[54:55], s[30:31], v[152:153]
	s_delay_alu instid0(VALU_DEP_3) | instskip(SKIP_1) | instid1(VALU_DEP_4)
	v_add_f64_e64 v[58:59], v[58:59], -v[60:61]
	v_mul_f64_e32 v[60:61], s[8:9], v[68:69]
	v_add_f64_e32 v[48:49], v[48:49], v[52:53]
	v_mul_f64_e32 v[52:53], s[30:31], v[126:127]
	s_delay_alu instid0(VALU_DEP_3) | instskip(SKIP_1) | instid1(VALU_DEP_4)
	v_add_f64_e64 v[60:61], v[60:61], -v[64:65]
	v_mul_f64_e32 v[64:65], s[16:17], v[72:73]
	v_add_f64_e32 v[46:47], v[46:47], v[48:49]
	s_delay_alu instid0(VALU_DEP_3) | instskip(NEXT) | instid1(VALU_DEP_3)
	v_add_f64_e32 v[50:51], v[60:61], v[50:51]
	v_add_f64_e64 v[64:65], v[64:65], -v[66:67]
	v_mul_f64_e32 v[60:61], s[20:21], v[92:93]
	s_delay_alu instid0(VALU_DEP_4) | instskip(NEXT) | instid1(VALU_DEP_3)
	v_add_f64_e32 v[44:45], v[44:45], v[46:47]
	v_add_f64_e32 v[50:51], v[64:65], v[50:51]
	s_wait_loadcnt 0x0
	s_delay_alu instid0(VALU_DEP_3)
	v_add_f64_e64 v[60:61], v[60:61], -v[62:63]
	scratch_load_b64 v[62:63], off, off offset:156 th:TH_LOAD_LU ; 8-byte Folded Reload
	v_add_f64_e32 v[50:51], v[60:61], v[50:51]
	scratch_load_b64 v[60:61], off, off offset:132 th:TH_LOAD_LU ; 8-byte Folded Reload
	v_add_f64_e32 v[48:49], v[58:59], v[50:51]
	scratch_load_b64 v[58:59], off, off offset:164 th:TH_LOAD_LU ; 8-byte Folded Reload
	v_mul_f64_e32 v[50:51], s[34:35], v[158:159]
	v_add_f64_e32 v[46:47], v[56:57], v[48:49]
	scratch_load_b64 v[56:57], off, off offset:148 th:TH_LOAD_LU ; 8-byte Folded Reload
	v_mul_f64_e32 v[48:49], s[34:35], v[136:137]
	s_wait_loadcnt 0x3
	v_add_f64_e32 v[54:55], v[62:63], v[54:55]
	s_wait_loadcnt 0x2
	v_add_f64_e64 v[52:53], v[52:53], -v[60:61]
	s_delay_alu instid0(VALU_DEP_2) | instskip(SKIP_2) | instid1(VALU_DEP_3)
	v_add_f64_e32 v[44:45], v[54:55], v[44:45]
	s_wait_loadcnt 0x1
	v_add_f64_e32 v[50:51], v[58:59], v[50:51]
	v_add_f64_e32 v[52:53], v[52:53], v[46:47]
	s_wait_loadcnt 0x0
	v_add_f64_e64 v[48:49], v[48:49], -v[56:57]
	s_delay_alu instid0(VALU_DEP_3) | instskip(NEXT) | instid1(VALU_DEP_2)
	v_add_f64_e32 v[46:47], v[50:51], v[44:45]
	v_add_f64_e32 v[44:45], v[48:49], v[52:53]
	scratch_load_b32 v48, off, off          ; 4-byte Folded Reload
	s_wait_loadcnt 0x0
	v_mul_lo_u16 v48, v48, 17
	s_delay_alu instid0(VALU_DEP_1) | instskip(NEXT) | instid1(VALU_DEP_1)
	v_and_b32_e32 v48, 0xffff, v48
	v_lshlrev_b32_e32 v48, 4, v48
	ds_store_b128 v48, v[16:19] offset:32
	ds_store_b128 v48, v[148:151] offset:192
	;; [unrolled: 1-line block ×15, first 2 shown]
	ds_store_b128 v48, v[4:7]
	ds_store_b128 v48, v[140:143] offset:256
.LBB0_7:
	s_or_b32 exec_lo, exec_lo, s33
	scratch_load_b32 v139, off, off         ; 4-byte Folded Reload
	s_load_b128 s[4:7], s[4:5], 0x0
	global_wb scope:SCOPE_SE
	s_wait_loadcnt_dscnt 0x0
	s_wait_kmcnt 0x0
	s_barrier_signal -1
	s_barrier_wait -1
	global_inv scope:SCOPE_SE
	s_mov_b32 s9, 0xbfebb67a
	v_add_co_u32 v120, null, 0xaa, v139
	v_and_b32_e32 v6, 0xff, v139
	v_add_co_u32 v0, null, 0x154, v139
	s_delay_alu instid0(VALU_DEP_3) | instskip(NEXT) | instid1(VALU_DEP_3)
	v_and_b32_e32 v1, 0xffff, v120
	v_mul_lo_u16 v3, 0xf1, v6
	s_delay_alu instid0(VALU_DEP_3) | instskip(NEXT) | instid1(VALU_DEP_3)
	v_and_b32_e32 v4, 0xffff, v0
	v_mul_u32_u24_e32 v1, 0xf0f1, v1
	s_delay_alu instid0(VALU_DEP_3) | instskip(NEXT) | instid1(VALU_DEP_3)
	v_lshrrev_b16 v39, 12, v3
	v_mul_u32_u24_e32 v40, 0xf0f1, v4
	s_delay_alu instid0(VALU_DEP_3) | instskip(NEXT) | instid1(VALU_DEP_3)
	v_lshrrev_b32_e32 v2, 20, v1
	v_mul_lo_u16 v5, v39, 17
	s_delay_alu instid0(VALU_DEP_3) | instskip(NEXT) | instid1(VALU_DEP_3)
	v_lshrrev_b32_e32 v3, 20, v40
	v_mul_lo_u16 v4, v2, 17
	s_delay_alu instid0(VALU_DEP_1) | instskip(NEXT) | instid1(VALU_DEP_4)
	v_sub_nc_u16 v36, v120, v4
	v_sub_nc_u16 v4, v139, v5
	s_delay_alu instid0(VALU_DEP_4) | instskip(NEXT) | instid1(VALU_DEP_3)
	v_mul_lo_u16 v5, v3, 17
	v_mul_lo_u16 v7, v36, 48
	s_delay_alu instid0(VALU_DEP_3) | instskip(NEXT) | instid1(VALU_DEP_3)
	v_and_b32_e32 v37, 0xff, v4
	v_sub_nc_u16 v38, v0, v5
	s_delay_alu instid0(VALU_DEP_3) | instskip(NEXT) | instid1(VALU_DEP_3)
	v_and_b32_e32 v7, 0xffff, v7
	v_mad_co_u64_u32 v[4:5], null, v37, 48, s[2:3]
	s_delay_alu instid0(VALU_DEP_3) | instskip(NEXT) | instid1(VALU_DEP_3)
	v_mul_lo_u16 v8, v38, 48
	v_add_co_u32 v24, s0, s2, v7
	s_wait_alu 0xf1ff
	v_add_co_ci_u32_e64 v25, null, s3, 0, s0
	s_delay_alu instid0(VALU_DEP_3)
	v_and_b32_e32 v7, 0xffff, v8
	s_clause 0x3
	global_load_b128 v[19:22], v[4:5], off
	global_load_b128 v[15:18], v[4:5], off offset:16
	global_load_b128 v[131:134], v[4:5], off offset:32
	global_load_b128 v[127:130], v[24:25], off
	v_and_b32_e32 v4, 0xffff, v139
	v_mul_lo_u16 v5, 0x79, v6
	v_add_co_u32 v26, s0, s2, v7
	s_wait_alu 0xf1ff
	v_add_co_ci_u32_e64 v27, null, s3, 0, s0
	s_clause 0x4
	global_load_b128 v[11:14], v[24:25], off offset:16
	global_load_b128 v[7:10], v[24:25], off offset:32
	global_load_b128 v[32:35], v[26:27], off
	global_load_b128 v[28:31], v[26:27], off offset:16
	global_load_b128 v[23:26], v[26:27], off offset:32
	v_lshlrev_b32_e32 v240, 4, v4
	ds_load_b128 v[41:44], v240 offset:8160
	ds_load_b128 v[45:48], v240 offset:16320
	;; [unrolled: 1-line block ×10, first 2 shown]
	v_add_co_u32 v4, null, 0x1fe, v139
	v_lshrrev_b16 v5, 13, v5
	s_delay_alu instid0(VALU_DEP_2) | instskip(NEXT) | instid1(VALU_DEP_1)
	v_and_b32_e32 v6, 0xffff, v4
	v_mul_u32_u24_e32 v6, 0xf0f1, v6
	s_delay_alu instid0(VALU_DEP_1)
	v_lshrrev_b32_e32 v6, 22, v6
	s_wait_loadcnt_dscnt 0x809
	v_mul_f64_e32 v[73:74], v[43:44], v[21:22]
	s_wait_loadcnt_dscnt 0x708
	v_mul_f64_e32 v[94:95], v[47:48], v[17:18]
	;; [unrolled: 2-line block ×4, first 2 shown]
	v_mul_f64_e32 v[92:93], v[41:42], v[21:22]
	v_mul_f64_e32 v[96:97], v[45:46], v[17:18]
	;; [unrolled: 1-line block ×4, first 2 shown]
	s_wait_loadcnt_dscnt 0x405
	v_mul_f64_e32 v[106:107], v[59:60], v[13:14]
	s_wait_loadcnt_dscnt 0x304
	v_mul_f64_e32 v[110:111], v[63:64], v[9:10]
	;; [unrolled: 2-line block ×3, first 2 shown]
	v_mul_f64_e32 v[116:117], v[65:66], v[34:35]
	s_wait_loadcnt_dscnt 0x102
	v_mul_f64_e32 v[118:119], v[71:72], v[30:31]
	v_mul_f64_e32 v[121:122], v[69:70], v[30:31]
	s_wait_loadcnt_dscnt 0x1
	v_mul_f64_e32 v[123:124], v[82:83], v[25:26]
	v_mul_f64_e32 v[125:126], v[80:81], v[25:26]
	;; [unrolled: 1-line block ×4, first 2 shown]
	s_clause 0x8
	scratch_store_b128 off, v[19:22], off offset:196
	scratch_store_b128 off, v[15:18], off offset:180
	scratch_store_b128 off, v[131:134], off offset:92
	scratch_store_b128 off, v[11:14], off offset:164
	scratch_store_b128 off, v[127:130], off offset:76
	scratch_store_b128 off, v[7:10], off offset:60
	scratch_store_b128 off, v[32:35], off offset:244
	scratch_store_b128 off, v[28:31], off offset:228
	scratch_store_b128 off, v[23:26], off offset:212
	v_lshrrev_b32_e32 v9, 22, v40
	v_fma_f64 v[73:74], v[41:42], v[19:20], -v[73:74]
	v_fma_f64 v[94:95], v[45:46], v[15:16], -v[94:95]
	;; [unrolled: 1-line block ×4, first 2 shown]
	v_fma_f64 v[92:93], v[43:44], v[19:20], v[92:93]
	v_fma_f64 v[96:97], v[47:48], v[15:16], v[96:97]
	v_fma_f64 v[51:52], v[51:52], v[131:132], v[100:101]
	v_fma_f64 v[55:56], v[55:56], v[127:128], v[104:105]
	v_fma_f64 v[57:58], v[57:58], v[11:12], -v[106:107]
	v_fma_f64 v[61:62], v[61:62], v[7:8], -v[110:111]
	;; [unrolled: 1-line block ×3, first 2 shown]
	v_fma_f64 v[67:68], v[67:68], v[32:33], v[116:117]
	v_fma_f64 v[69:70], v[69:70], v[28:29], -v[118:119]
	v_fma_f64 v[71:72], v[71:72], v[28:29], v[121:122]
	v_fma_f64 v[80:81], v[80:81], v[23:24], -v[123:124]
	v_fma_f64 v[82:83], v[82:83], v[23:24], v[125:126]
	v_fma_f64 v[59:60], v[59:60], v[11:12], v[108:109]
	;; [unrolled: 1-line block ×3, first 2 shown]
	ds_load_b128 v[41:44], v240
	ds_load_b128 v[45:48], v240 offset:2720
	v_lshrrev_b32_e32 v8, 22, v1
	v_and_b32_e32 v1, 0xffff, v39
	v_mul_lo_u16 v7, 0x44, v5
	v_mul_lo_u16 v11, 0x44, v9
	;; [unrolled: 1-line block ×4, first 2 shown]
	v_mul_u32_u24_e32 v1, 0x44, v1
	v_sub_nc_u16 v7, v139, v7
	v_sub_nc_u16 v11, v0, v11
	v_mad_u16 v0, 0x44, v2, v36
	v_sub_nc_u16 v10, v120, v10
	v_add_lshl_u32 v40, v1, v37, 4
	v_mad_u16 v1, 0x44, v3, v38
	v_sub_nc_u16 v4, v4, v39
	v_and_b32_e32 v7, 0xff, v7
	v_lshlrev_b16 v3, 5, v10
	v_lshlrev_b16 v36, 5, v11
	v_and_b32_e32 v0, 0xffff, v0
	v_and_b32_e32 v1, 0xffff, v1
	v_lshlrev_b16 v37, 5, v4
	s_wait_dscnt 0x1
	v_add_f64_e64 v[94:95], v[41:42], -v[94:95]
	v_add_f64_e64 v[49:50], v[73:74], -v[49:50]
	v_and_b32_e32 v3, 0xffff, v3
	v_lshlrev_b32_e32 v2, 5, v7
	v_add_f64_e64 v[96:97], v[43:44], -v[96:97]
	v_add_f64_e64 v[51:52], v[92:93], -v[51:52]
	v_and_b32_e32 v36, 0xffff, v36
	s_wait_dscnt 0x0
	v_add_f64_e64 v[98:99], v[45:46], -v[57:58]
	v_add_f64_e64 v[57:58], v[53:54], -v[61:62]
	v_lshlrev_b32_e32 v39, 4, v0
	v_lshlrev_b32_e32 v38, 4, v1
	v_add_f64_e64 v[102:103], v[88:89], -v[69:70]
	v_add_f64_e64 v[104:105], v[90:91], -v[71:72]
	;; [unrolled: 1-line block ×6, first 2 shown]
	v_add_co_u32 v0, s0, s2, v3
	v_and_b32_e32 v37, 0xffff, v37
	s_wait_alu 0xf1ff
	v_add_co_ci_u32_e64 v1, null, s3, 0, s0
	global_wb scope:SCOPE_SE
	s_wait_storecnt 0x0
	s_barrier_signal -1
	s_barrier_wait -1
	global_inv scope:SCOPE_SE
	v_and_b32_e32 v5, 0xffff, v5
	v_mad_u16 v8, 0xcc, v8, v10
	v_mad_u16 v9, 0xcc, v9, v11
	;; [unrolled: 1-line block ×3, first 2 shown]
	s_delay_alu instid0(VALU_DEP_4) | instskip(NEXT) | instid1(VALU_DEP_4)
	v_mul_u32_u24_e32 v5, 0xcc, v5
	v_and_b32_e32 v6, 0xffff, v8
	s_delay_alu instid0(VALU_DEP_4) | instskip(NEXT) | instid1(VALU_DEP_4)
	v_and_b32_e32 v8, 0xffff, v9
	v_and_b32_e32 v4, 0xffff, v4
	s_delay_alu instid0(VALU_DEP_4) | instskip(NEXT) | instid1(VALU_DEP_4)
	v_add_lshl_u32 v7, v5, v7, 4
	v_lshlrev_b32_e32 v6, 4, v6
	v_fma_f64 v[71:72], v[41:42], 2.0, -v[94:95]
	v_fma_f64 v[63:64], v[73:74], 2.0, -v[49:50]
	v_lshlrev_b32_e32 v5, 4, v8
	v_lshlrev_b32_e32 v4, 4, v4
	v_fma_f64 v[82:83], v[43:44], 2.0, -v[96:97]
	v_fma_f64 v[73:74], v[92:93], 2.0, -v[51:52]
	v_add_f64_e64 v[41:42], v[94:95], -v[51:52]
	v_fma_f64 v[92:93], v[45:46], 2.0, -v[98:99]
	v_fma_f64 v[80:81], v[53:54], 2.0, -v[57:58]
	v_add_f64_e32 v[43:44], v[96:97], v[49:50]
	v_fma_f64 v[108:109], v[88:89], 2.0, -v[102:103]
	v_fma_f64 v[90:91], v[90:91], 2.0, -v[104:105]
	v_fma_f64 v[65:66], v[65:66], 2.0, -v[69:70]
	v_fma_f64 v[67:68], v[67:68], 2.0, -v[61:62]
	v_fma_f64 v[106:107], v[47:48], 2.0, -v[100:101]
	v_fma_f64 v[55:56], v[55:56], 2.0, -v[59:60]
	v_add_f64_e64 v[45:46], v[98:99], -v[59:60]
	v_add_f64_e32 v[47:48], v[100:101], v[57:58]
	v_add_f64_e64 v[53:54], v[102:103], -v[61:62]
	v_add_f64_e64 v[49:50], v[71:72], -v[63:64]
	;; [unrolled: 1-line block ×6, first 2 shown]
	v_fma_f64 v[65:66], v[94:95], 2.0, -v[41:42]
	v_add_f64_e64 v[59:60], v[106:107], -v[55:56]
	v_add_f64_e32 v[55:56], v[104:105], v[69:70]
	v_fma_f64 v[67:68], v[96:97], 2.0, -v[43:44]
	v_fma_f64 v[69:70], v[98:99], 2.0, -v[45:46]
	;; [unrolled: 1-line block ×6, first 2 shown]
	ds_store_b128 v40, v[49:52] offset:544
	ds_store_b128 v40, v[41:44] offset:816
	ds_store_b128 v40, v[80:83]
	v_fma_f64 v[96:97], v[108:109], 2.0, -v[61:62]
	v_fma_f64 v[98:99], v[90:91], 2.0, -v[63:64]
	;; [unrolled: 1-line block ×5, first 2 shown]
	scratch_store_b32 off, v40, off offset:156 ; 4-byte Folded Spill
	ds_store_b128 v40, v[65:68] offset:272
	ds_store_b128 v39, v[57:60] offset:544
	;; [unrolled: 1-line block ×3, first 2 shown]
	ds_store_b128 v39, v[92:95]
	scratch_store_b32 off, v39, off offset:148 ; 4-byte Folded Spill
	ds_store_b128 v39, v[69:72] offset:272
	ds_store_b128 v38, v[96:99]
	ds_store_b128 v38, v[88:91] offset:272
	ds_store_b128 v38, v[61:64] offset:544
	scratch_store_b32 off, v38, off offset:140 ; 4-byte Folded Spill
	ds_store_b128 v38, v[53:56] offset:816
	global_wb scope:SCOPE_SE
	s_wait_storecnt_dscnt 0x0
	s_barrier_signal -1
	s_barrier_wait -1
	global_inv scope:SCOPE_SE
	s_clause 0x1
	global_load_b128 v[12:15], v2, s[2:3] offset:832
	global_load_b128 v[56:59], v2, s[2:3] offset:816
	v_add_co_u32 v2, s0, s2, v36
	s_wait_alu 0xf1ff
	v_add_co_ci_u32_e64 v3, null, s3, 0, s0
	s_clause 0x1
	global_load_b128 v[16:19], v[0:1], off offset:832
	global_load_b128 v[60:63], v[0:1], off offset:816
	v_add_co_u32 v0, s0, s2, v37
	s_wait_alu 0xf1ff
	v_add_co_ci_u32_e64 v1, null, s3, 0, s0
	s_clause 0x3
	global_load_b128 v[52:55], v[2:3], off offset:816
	global_load_b128 v[48:51], v[2:3], off offset:832
	;; [unrolled: 1-line block ×4, first 2 shown]
	ds_load_b128 v[0:3], v240 offset:10880
	ds_load_b128 v[36:39], v240 offset:21760
	;; [unrolled: 1-line block ×8, first 2 shown]
	s_mov_b32 s0, 0xe8584caa
	s_mov_b32 s1, 0x3febb67a
	s_wait_alu 0xfffe
	s_mov_b32 s8, s0
	s_wait_loadcnt_dscnt 0x706
	v_mul_f64_e32 v[108:109], v[38:39], v[14:15]
	s_wait_loadcnt 0x6
	v_mul_f64_e32 v[104:105], v[2:3], v[58:59]
	v_mul_f64_e32 v[106:107], v[0:1], v[58:59]
	v_mul_f64_e32 v[110:111], v[36:37], v[14:15]
	scratch_store_b128 off, v[12:15], off offset:260 ; 16-byte Folded Spill
	s_wait_loadcnt 0x5
	scratch_store_b128 off, v[16:19], off offset:276 ; 16-byte Folded Spill
	s_wait_loadcnt_dscnt 0x405
	v_mul_f64_e32 v[112:113], v[66:67], v[62:63]
	v_mul_f64_e32 v[114:115], v[64:65], v[62:63]
	s_wait_dscnt 0x4
	v_mul_f64_e32 v[116:117], v[82:83], v[18:19]
	v_mul_f64_e32 v[118:119], v[80:81], v[18:19]
	s_wait_loadcnt_dscnt 0x303
	v_mul_f64_e32 v[121:122], v[90:91], v[54:55]
	v_mul_f64_e32 v[123:124], v[88:89], v[54:55]
	s_wait_loadcnt_dscnt 0x202
	;; [unrolled: 3-line block ×4, first 2 shown]
	v_mul_f64_e32 v[133:134], v[102:103], v[70:71]
	v_mul_f64_e32 v[135:136], v[100:101], v[70:71]
	v_fma_f64 v[108:109], v[36:37], v[12:13], -v[108:109]
	v_fma_f64 v[104:105], v[0:1], v[56:57], -v[104:105]
	v_fma_f64 v[106:107], v[2:3], v[56:57], v[106:107]
	v_fma_f64 v[110:111], v[38:39], v[12:13], v[110:111]
	ds_load_b128 v[0:3], v240
	ds_load_b128 v[36:39], v240 offset:2720
	v_fma_f64 v[112:113], v[64:65], v[60:61], -v[112:113]
	v_fma_f64 v[114:115], v[66:67], v[60:61], v[114:115]
	v_fma_f64 v[116:117], v[80:81], v[16:17], -v[116:117]
	v_fma_f64 v[118:119], v[82:83], v[16:17], v[118:119]
	;; [unrolled: 2-line block ×6, first 2 shown]
	ds_load_b128 v[64:67], v240 offset:5440
	ds_load_b128 v[80:83], v240 offset:8160
	global_wb scope:SCOPE_SE
	s_wait_storecnt_dscnt 0x0
	s_barrier_signal -1
	s_barrier_wait -1
	global_inv scope:SCOPE_SE
	v_add_f64_e32 v[121:122], v[104:105], v[108:109]
	v_add_f64_e32 v[137:138], v[0:1], v[104:105]
	;; [unrolled: 1-line block ×3, first 2 shown]
	v_add_f64_e64 v[152:153], v[106:107], -v[110:111]
	v_add_f64_e32 v[106:107], v[2:3], v[106:107]
	v_add_f64_e32 v[154:155], v[36:37], v[112:113]
	;; [unrolled: 1-line block ×13, first 2 shown]
	v_add_f64_e64 v[104:105], v[104:105], -v[108:109]
	v_add_f64_e64 v[114:115], v[114:115], -v[118:119]
	;; [unrolled: 1-line block ×7, first 2 shown]
	v_fma_f64 v[121:122], v[121:122], -0.5, v[0:1]
	v_add_f64_e32 v[0:1], v[137:138], v[108:109]
	v_fma_f64 v[123:124], v[123:124], -0.5, v[2:3]
	v_add_f64_e32 v[2:3], v[106:107], v[110:111]
	v_fma_f64 v[125:126], v[125:126], -0.5, v[36:37]
	v_fma_f64 v[127:128], v[127:128], -0.5, v[38:39]
	v_add_f64_e32 v[36:37], v[154:155], v[116:117]
	v_add_f64_e32 v[38:39], v[156:157], v[118:119]
	v_fma_f64 v[129:130], v[129:130], -0.5, v[64:65]
	v_fma_f64 v[131:132], v[131:132], -0.5, v[66:67]
	v_add_f64_e32 v[64:65], v[158:159], v[92:93]
	;; [unrolled: 4-line block ×3, first 2 shown]
	v_add_f64_e32 v[82:83], v[164:165], v[102:103]
                                        ; implicit-def: $vgpr164_vgpr165
	s_wait_alu 0xfffe
	v_fma_f64 v[92:93], v[152:153], s[8:9], v[121:122]
	v_fma_f64 v[88:89], v[152:153], s[0:1], v[121:122]
	;; [unrolled: 1-line block ×4, first 2 shown]
	ds_store_b128 v7, v[0:3]
	ds_store_b128 v7, v[88:91] offset:1088
	v_fma_f64 v[100:101], v[114:115], s[8:9], v[125:126]
	v_fma_f64 v[102:103], v[112:113], s[0:1], v[127:128]
	;; [unrolled: 1-line block ×12, first 2 shown]
	scratch_store_b32 off, v7, off offset:132 ; 4-byte Folded Spill
	ds_store_b128 v7, v[92:95] offset:2176
	ds_store_b128 v6, v[36:39]
	ds_store_b128 v6, v[96:99] offset:1088
	scratch_store_b32 off, v6, off offset:124 ; 4-byte Folded Spill
	ds_store_b128 v6, v[100:103] offset:2176
	ds_store_b128 v5, v[64:67]
	ds_store_b128 v5, v[104:107] offset:1088
	;; [unrolled: 4-line block ×3, first 2 shown]
	scratch_store_b32 off, v4, off offset:108 ; 4-byte Folded Spill
	ds_store_b128 v4, v[160:163] offset:2176
	global_wb scope:SCOPE_SE
	s_wait_storecnt_dscnt 0x0
	s_barrier_signal -1
	s_barrier_wait -1
	global_inv scope:SCOPE_SE
	ds_load_b128 v[152:155], v240
	ds_load_b128 v[64:67], v240 offset:3264
	ds_load_b128 v[96:99], v240 offset:6528
	;; [unrolled: 1-line block ×9, first 2 shown]
	v_cmp_gt_u16_e64 s0, 34, v139
                                        ; implicit-def: $vgpr168_vgpr169
                                        ; implicit-def: $vgpr172_vgpr173
	s_delay_alu instid0(VALU_DEP_1)
	s_and_saveexec_b32 s1, s0
	s_cbranch_execz .LBB0_9
; %bb.8:
	ds_load_b128 v[156:159], v240 offset:2720
	ds_load_b128 v[160:163], v240 offset:5984
	;; [unrolled: 1-line block ×10, first 2 shown]
.LBB0_9:
	s_wait_alu 0xfffe
	s_or_b32 exec_lo, exec_lo, s1
	scratch_load_b32 v4, off, off           ; 4-byte Folded Reload
	s_mov_b32 s16, 0x134454ff
	s_mov_b32 s17, 0x3fee6f0e
	;; [unrolled: 1-line block ×3, first 2 shown]
	s_wait_alu 0xfffe
	s_mov_b32 s18, s16
	s_mov_b32 s9, 0xbfe2cf23
	;; [unrolled: 1-line block ×6, first 2 shown]
	s_wait_loadcnt 0x0
	v_mad_co_u64_u32 v[121:122], null, 0x90, v4, s[2:3]
	v_subrev_nc_u32_e32 v4, 34, v4
	s_clause 0x1
	global_load_b128 v[104:107], v[121:122], off offset:3024
	global_load_b128 v[108:111], v[121:122], off offset:3040
	v_cndmask_b32_e64 v4, v4, v120, s0
	s_delay_alu instid0(VALU_DEP_1) | instskip(SKIP_1) | instid1(VALU_DEP_2)
	v_mul_i32_i24_e32 v5, 0x90, v4
	v_mul_hi_i32_i24_e32 v4, 0x90, v4
	v_add_co_u32 v188, s1, s2, v5
	s_wait_alu 0xf1ff
	s_delay_alu instid0(VALU_DEP_2)
	v_add_co_ci_u32_e64 v189, s1, s3, v4, s1
	s_mov_b32 s2, 0x4755a5e
	s_mov_b32 s3, 0x3fe2cf23
	s_wait_alu 0xfffe
	s_mov_b32 s8, s2
	s_wait_loadcnt_dscnt 0x106
	v_mul_f64_e32 v[0:1], v[114:115], v[106:107]
	s_delay_alu instid0(VALU_DEP_1) | instskip(SKIP_1) | instid1(VALU_DEP_1)
	v_fma_f64 v[2:3], v[112:113], v[104:105], -v[0:1]
	v_mul_f64_e32 v[0:1], v[112:113], v[106:107]
	v_fma_f64 v[0:1], v[114:115], v[104:105], v[0:1]
	s_clause 0x1
	global_load_b128 v[124:127], v[121:122], off offset:3056
	global_load_b128 v[112:115], v[121:122], off offset:3072
	s_wait_loadcnt_dscnt 0x104
	v_mul_f64_e32 v[128:129], v[118:119], v[126:127]
	s_delay_alu instid0(VALU_DEP_1) | instskip(SKIP_1) | instid1(VALU_DEP_1)
	v_fma_f64 v[178:179], v[116:117], v[124:125], -v[128:129]
	v_mul_f64_e32 v[116:117], v[116:117], v[126:127]
	v_fma_f64 v[176:177], v[118:119], v[124:125], v[116:117]
	s_clause 0x3
	global_load_b128 v[132:135], v[121:122], off offset:3088
	global_load_b128 v[116:119], v[121:122], off offset:3104
	;; [unrolled: 1-line block ×4, first 2 shown]
	s_wait_loadcnt_dscnt 0x302
	v_mul_f64_e32 v[128:129], v[38:39], v[134:135]
	s_delay_alu instid0(VALU_DEP_1)
	v_fma_f64 v[180:181], v[36:37], v[132:133], -v[128:129]
	s_clause 0x1
	global_load_b128 v[128:131], v[121:122], off offset:3008
	global_load_b128 v[120:123], v[121:122], off offset:2992
	v_mul_f64_e32 v[36:37], v[36:37], v[134:135]
	v_add_f64_e64 v[228:229], v[178:179], -v[180:181]
	s_delay_alu instid0(VALU_DEP_2) | instskip(SKIP_2) | instid1(VALU_DEP_2)
	v_fma_f64 v[36:37], v[38:39], v[132:133], v[36:37]
	s_wait_loadcnt_dscnt 0x300
	v_mul_f64_e32 v[38:39], v[102:103], v[138:139]
	v_add_f64_e64 v[232:233], v[176:177], -v[36:37]
	s_delay_alu instid0(VALU_DEP_2) | instskip(SKIP_1) | instid1(VALU_DEP_2)
	v_fma_f64 v[184:185], v[100:101], v[136:137], -v[38:39]
	v_mul_f64_e32 v[38:39], v[100:101], v[138:139]
	v_add_f64_e64 v[226:227], v[2:3], -v[184:185]
	s_delay_alu instid0(VALU_DEP_2) | instskip(NEXT) | instid1(VALU_DEP_1)
	v_fma_f64 v[182:183], v[102:103], v[136:137], v[38:39]
	v_add_f64_e64 v[230:231], v[0:1], -v[182:183]
	s_wait_loadcnt 0x1
	v_mul_f64_e32 v[38:39], v[98:99], v[130:131]
	s_delay_alu instid0(VALU_DEP_1) | instskip(SKIP_1) | instid1(VALU_DEP_1)
	v_fma_f64 v[186:187], v[96:97], v[128:129], -v[38:39]
	v_mul_f64_e32 v[38:39], v[96:97], v[130:131]
	v_fma_f64 v[204:205], v[98:99], v[128:129], v[38:39]
	v_mul_f64_e32 v[38:39], v[94:95], v[110:111]
	s_delay_alu instid0(VALU_DEP_1) | instskip(SKIP_1) | instid1(VALU_DEP_1)
	v_fma_f64 v[206:207], v[92:93], v[108:109], -v[38:39]
	v_mul_f64_e32 v[38:39], v[92:93], v[110:111]
	v_fma_f64 v[208:209], v[94:95], v[108:109], v[38:39]
	v_mul_f64_e32 v[38:39], v[90:91], v[114:115]
	s_delay_alu instid0(VALU_DEP_1) | instskip(SKIP_1) | instid1(VALU_DEP_2)
	v_fma_f64 v[212:213], v[88:89], v[112:113], -v[38:39]
	v_mul_f64_e32 v[38:39], v[88:89], v[114:115]
	v_add_f64_e64 v[241:242], v[206:207], -v[212:213]
	s_delay_alu instid0(VALU_DEP_2) | instskip(SKIP_1) | instid1(VALU_DEP_2)
	v_fma_f64 v[214:215], v[90:91], v[112:113], v[38:39]
	v_mul_f64_e32 v[38:39], v[82:83], v[118:119]
	v_add_f64_e64 v[236:237], v[208:209], -v[214:215]
	s_delay_alu instid0(VALU_DEP_2) | instskip(SKIP_1) | instid1(VALU_DEP_2)
	v_fma_f64 v[218:219], v[80:81], v[116:117], -v[38:39]
	v_mul_f64_e32 v[38:39], v[80:81], v[118:119]
	v_add_f64_e64 v[238:239], v[186:187], -v[218:219]
	s_delay_alu instid0(VALU_DEP_2)
	v_fma_f64 v[220:221], v[82:83], v[116:117], v[38:39]
	s_clause 0x1
	global_load_b128 v[80:83], v[188:189], off offset:3024
	global_load_b128 v[8:11], v[188:189], off offset:3008
	s_wait_loadcnt 0x2
	v_mul_f64_e32 v[38:39], v[66:67], v[122:123]
	v_add_f64_e64 v[234:235], v[204:205], -v[220:221]
	s_delay_alu instid0(VALU_DEP_2) | instskip(SKIP_1) | instid1(VALU_DEP_1)
	v_fma_f64 v[210:211], v[64:65], v[120:121], -v[38:39]
	v_mul_f64_e32 v[38:39], v[64:65], v[122:123]
	v_fma_f64 v[216:217], v[66:67], v[120:121], v[38:39]
	s_wait_loadcnt 0x1
	v_mul_f64_e32 v[38:39], v[78:79], v[82:83]
	scratch_store_b128 off, v[80:83], off offset:376 ; 16-byte Folded Spill
	s_wait_loadcnt 0x0
	v_mul_f64_e32 v[92:93], v[148:149], v[10:11]
	v_fma_f64 v[64:65], v[76:77], v[80:81], -v[38:39]
	v_mul_f64_e32 v[38:39], v[76:77], v[82:83]
	s_delay_alu instid0(VALU_DEP_3) | instskip(NEXT) | instid1(VALU_DEP_2)
	v_fma_f64 v[92:93], v[150:151], v[8:9], v[92:93]
	v_fma_f64 v[38:39], v[78:79], v[80:81], v[38:39]
	s_clause 0x1
	global_load_b128 v[78:81], v[188:189], off offset:3120
	global_load_b128 v[190:193], v[188:189], off offset:3104
	s_wait_loadcnt 0x1
	scratch_store_b128 off, v[78:81], off offset:392 ; 16-byte Folded Spill
	s_clause 0x1
	global_load_b128 v[88:91], v[188:189], off offset:3056
	global_load_b128 v[98:101], v[188:189], off offset:3040
	v_mul_f64_e32 v[66:67], v[174:175], v[80:81]
	s_wait_loadcnt 0x2
	v_mul_f64_e32 v[102:103], v[166:167], v[192:193]
	s_delay_alu instid0(VALU_DEP_2) | instskip(SKIP_1) | instid1(VALU_DEP_3)
	v_fma_f64 v[76:77], v[172:173], v[78:79], -v[66:67]
	v_mul_f64_e32 v[66:67], v[172:173], v[80:81]
	v_fma_f64 v[102:103], v[164:165], v[190:191], -v[102:103]
	s_delay_alu instid0(VALU_DEP_2)
	v_fma_f64 v[66:67], v[174:175], v[78:79], v[66:67]
	s_wait_loadcnt 0x1
	v_mul_f64_e32 v[78:79], v[84:85], v[90:91]
	v_mul_f64_e32 v[80:81], v[86:87], v[90:91]
	scratch_store_b128 off, v[88:91], off offset:408 ; 16-byte Folded Spill
	v_mul_f64_e32 v[90:91], v[150:151], v[10:11]
	s_wait_loadcnt 0x0
	v_mul_f64_e32 v[94:95], v[146:147], v[100:101]
	v_mul_f64_e32 v[96:97], v[144:145], v[100:101]
	v_add_f64_e32 v[150:151], v[152:153], v[186:187]
	v_fma_f64 v[78:79], v[86:87], v[88:89], v[78:79]
	v_fma_f64 v[82:83], v[84:85], v[88:89], -v[80:81]
	s_clause 0x1
	global_load_b128 v[86:89], v[188:189], off offset:3088
	global_load_b128 v[172:175], v[188:189], off offset:3072
	scratch_store_b128 off, v[98:101], off offset:344 ; 16-byte Folded Spill
	v_fma_f64 v[90:91], v[148:149], v[8:9], -v[90:91]
	v_fma_f64 v[94:95], v[144:145], v[98:99], -v[94:95]
	v_fma_f64 v[96:97], v[146:147], v[98:99], v[96:97]
	v_add_f64_e32 v[144:145], v[186:187], v[218:219]
	v_add_f64_e32 v[146:147], v[208:209], v[214:215]
	;; [unrolled: 1-line block ×4, first 2 shown]
	s_clause 0x1
	scratch_store_b128 off, v[4:7], off offset:296
	scratch_store_b128 off, v[190:193], off offset:328
	v_fma_f64 v[144:145], v[144:145], -0.5, v[152:153]
	v_fma_f64 v[146:147], v[146:147], -0.5, v[154:155]
	;; [unrolled: 1-line block ×3, first 2 shown]
	v_add_f64_e32 v[150:151], v[150:151], v[212:213]
	s_delay_alu instid0(VALU_DEP_1)
	v_add_f64_e32 v[150:151], v[150:151], v[218:219]
	s_wait_loadcnt 0x1
	v_mul_f64_e32 v[84:85], v[170:171], v[88:89]
	s_wait_loadcnt 0x0
	v_mul_f64_e32 v[100:101], v[140:141], v[174:175]
	v_mul_f64_e32 v[80:81], v[168:169], v[88:89]
	scratch_store_b128 off, v[86:89], off offset:424 ; 16-byte Folded Spill
	v_mul_f64_e32 v[98:99], v[142:143], v[174:175]
	scratch_store_b128 off, v[172:175], off offset:360 ; 16-byte Folded Spill
	v_add_f64_e64 v[174:175], v[182:183], -v[36:37]
	v_fma_f64 v[88:89], v[168:169], v[86:87], -v[84:85]
	v_mul_f64_e32 v[84:85], v[162:163], v[6:7]
	v_fma_f64 v[100:101], v[142:143], v[172:173], v[100:101]
	v_add_f64_e32 v[142:143], v[206:207], v[212:213]
	v_fma_f64 v[80:81], v[170:171], v[86:87], v[80:81]
	v_mul_f64_e32 v[86:87], v[160:161], v[6:7]
	v_fma_f64 v[98:99], v[140:141], v[172:173], -v[98:99]
	v_mul_f64_e32 v[140:141], v[164:165], v[192:193]
	v_add_f64_e64 v[172:173], v[184:185], -v[180:181]
	v_add_f64_e32 v[192:193], v[176:177], v[36:37]
	v_fma_f64 v[84:85], v[160:161], v[4:5], -v[84:85]
	v_add_f64_e32 v[160:161], v[216:217], v[0:1]
	v_fma_f64 v[142:143], v[142:143], -0.5, v[152:153]
	v_add_f64_e32 v[152:153], v[154:155], v[204:205]
	v_add_f64_e32 v[154:155], v[210:211], v[2:3]
	v_fma_f64 v[86:87], v[162:163], v[4:5], v[86:87]
	v_fma_f64 v[140:141], v[166:167], v[190:191], v[140:141]
	v_fma_f64 v[224:225], v[192:193], -0.5, v[216:217]
	v_add_f64_e32 v[166:167], v[84:85], v[64:65]
	v_add_f64_e32 v[160:161], v[160:161], v[176:177]
	;; [unrolled: 1-line block ×5, first 2 shown]
	v_fma_f64 v[192:193], v[226:227], s[18:19], v[224:225]
	v_add_f64_e32 v[166:167], v[166:167], v[82:83]
	v_add_f64_e32 v[160:161], v[160:161], v[36:37]
	v_add_f64_e64 v[36:37], v[36:37], -v[182:183]
	v_add_f64_e32 v[152:153], v[152:153], v[214:215]
	v_add_f64_e32 v[154:155], v[154:155], v[180:181]
	;; [unrolled: 1-line block ×3, first 2 shown]
	s_wait_alu 0xfffe
	v_fma_f64 v[192:193], v[228:229], s[8:9], v[192:193]
	v_add_f64_e32 v[166:167], v[166:167], v[88:89]
	v_add_f64_e32 v[160:161], v[160:161], v[182:183]
	;; [unrolled: 1-line block ×6, first 2 shown]
	s_delay_alu instid0(VALU_DEP_4) | instskip(NEXT) | instid1(VALU_DEP_4)
	v_add_f64_e32 v[154:155], v[162:163], v[160:161]
	v_add_f64_e32 v[152:153], v[150:151], v[164:165]
	v_add_f64_e64 v[188:189], v[150:151], -v[164:165]
	v_add_f64_e64 v[190:191], v[162:163], -v[160:161]
	v_add_f64_e32 v[150:151], v[94:95], v[98:99]
	v_add_f64_e32 v[160:161], v[90:91], v[102:103]
	;; [unrolled: 1-line block ×5, first 2 shown]
	v_fma_f64 v[150:151], v[150:151], -0.5, v[156:157]
	v_fma_f64 v[160:161], v[160:161], -0.5, v[156:157]
	v_fma_f64 v[162:163], v[162:163], -0.5, v[158:159]
	v_fma_f64 v[164:165], v[164:165], -0.5, v[158:159]
	v_add_f64_e32 v[158:159], v[158:159], v[92:93]
	v_add_f64_e32 v[156:157], v[156:157], v[90:91]
	s_delay_alu instid0(VALU_DEP_2) | instskip(NEXT) | instid1(VALU_DEP_2)
	v_add_f64_e32 v[158:159], v[158:159], v[96:97]
	v_add_f64_e32 v[156:157], v[156:157], v[94:95]
	s_delay_alu instid0(VALU_DEP_2) | instskip(NEXT) | instid1(VALU_DEP_2)
	;; [unrolled: 3-line block ×4, first 2 shown]
	v_add_f64_e32 v[198:199], v[158:159], v[170:171]
	v_add_f64_e32 v[196:197], v[156:157], v[166:167]
	v_add_f64_e64 v[168:169], v[156:157], -v[166:167]
	v_add_f64_e64 v[170:171], v[158:159], -v[170:171]
	;; [unrolled: 1-line block ×7, first 2 shown]
	s_delay_alu instid0(VALU_DEP_4) | instskip(SKIP_3) | instid1(VALU_DEP_3)
	v_add_f64_e32 v[156:157], v[156:157], v[158:159]
	v_add_f64_e64 v[158:159], v[204:205], -v[208:209]
	v_add_f64_e64 v[204:205], v[208:209], -v[204:205]
	;; [unrolled: 1-line block ×3, first 2 shown]
	v_add_f64_e32 v[158:159], v[158:159], v[166:167]
	v_add_f64_e64 v[166:167], v[2:3], -v[178:179]
	s_delay_alu instid0(VALU_DEP_1) | instskip(SKIP_4) | instid1(VALU_DEP_4)
	v_add_f64_e32 v[166:167], v[166:167], v[172:173]
	v_add_f64_e64 v[172:173], v[0:1], -v[176:177]
	v_add_f64_e64 v[176:177], v[176:177], -v[0:1]
	v_add_f64_e32 v[0:1], v[0:1], v[182:183]
	v_add_f64_e32 v[182:183], v[186:187], v[206:207]
	;; [unrolled: 1-line block ×4, first 2 shown]
	v_add_f64_e64 v[178:179], v[178:179], -v[2:3]
	v_add_f64_e32 v[2:3], v[2:3], v[184:185]
	v_fma_f64 v[0:1], v[0:1], -0.5, v[216:217]
	v_add_f64_e64 v[180:181], v[180:181], -v[184:185]
	v_add_f64_e32 v[36:37], v[176:177], v[36:37]
	v_add_f64_e32 v[184:185], v[204:205], v[208:209]
	v_fma_f64 v[204:205], v[241:242], s[16:17], v[148:149]
	v_fma_f64 v[192:193], v[172:173], s[10:11], v[192:193]
	v_fma_f64 v[174:175], v[174:175], -0.5, v[210:211]
	v_fma_f64 v[2:3], v[2:3], -0.5, v[210:211]
	v_fma_f64 v[176:177], v[228:229], s[16:17], v[0:1]
	v_add_f64_e32 v[178:179], v[178:179], v[180:181]
	v_fma_f64 v[0:1], v[228:229], s[18:19], v[0:1]
	v_fma_f64 v[204:205], v[238:239], s[8:9], v[204:205]
	v_mul_f64_e32 v[200:201], s[2:3], v[192:193]
	v_fma_f64 v[194:195], v[230:231], s[16:17], v[174:175]
	v_fma_f64 v[180:181], v[232:233], s[18:19], v[2:3]
	;; [unrolled: 1-line block ×14, first 2 shown]
	v_mul_f64_e32 v[186:187], s[16:17], v[176:177]
	v_fma_f64 v[2:3], v[178:179], s[10:11], v[2:3]
	v_add_f64_e64 v[178:179], v[96:97], -v[100:101]
	v_fma_f64 v[36:37], v[234:235], s[8:9], v[36:37]
	v_fma_f64 v[200:201], v[194:195], s[20:21], v[200:201]
	v_mul_f64_e32 v[194:195], s[8:9], v[194:195]
	v_fma_f64 v[186:187], v[180:181], s[10:11], v[186:187]
	v_mul_f64_e32 v[180:181], s[18:19], v[180:181]
	v_fma_f64 v[36:37], v[182:183], s[10:11], v[36:37]
	s_delay_alu instid0(VALU_DEP_4)
	v_fma_f64 v[202:203], v[192:193], s[20:21], v[194:195]
	v_fma_f64 v[192:193], v[234:235], s[16:17], v[142:143]
	;; [unrolled: 1-line block ×6, first 2 shown]
	v_mul_f64_e32 v[148:149], s[10:11], v[2:3]
	v_fma_f64 v[192:193], v[236:237], s[2:3], v[192:193]
	v_fma_f64 v[194:195], v[241:242], s[8:9], v[194:195]
	v_add_f64_e32 v[206:207], v[208:209], v[176:177]
	v_add_f64_e64 v[214:215], v[208:209], -v[176:177]
	v_fma_f64 v[144:145], v[238:239], s[2:3], v[144:145]
	v_fma_f64 v[148:149], v[0:1], s[16:17], -v[148:149]
	v_mul_f64_e32 v[0:1], s[10:11], v[0:1]
	v_fma_f64 v[180:181], v[234:235], s[2:3], v[180:181]
	v_fma_f64 v[222:223], v[156:157], s[10:11], v[192:193]
	;; [unrolled: 1-line block ×4, first 2 shown]
	v_add_f64_e32 v[208:209], v[36:37], v[148:149]
	v_fma_f64 v[0:1], v[2:3], s[18:19], -v[0:1]
	v_fma_f64 v[2:3], v[226:227], s[16:17], v[224:225]
	v_add_f64_e64 v[220:221], v[36:37], -v[148:149]
	v_fma_f64 v[36:37], v[234:235], s[18:19], v[142:143]
	v_fma_f64 v[142:143], v[238:239], s[16:17], v[146:147]
	v_add_f64_e32 v[146:147], v[82:83], v[88:89]
	v_add_f64_e64 v[148:149], v[64:65], -v[76:77]
	v_fma_f64 v[180:181], v[182:183], s[10:11], v[180:181]
	v_add_f64_e64 v[184:185], v[90:91], -v[102:103]
	v_add_f64_e32 v[192:193], v[222:223], v[200:201]
	v_add_f64_e64 v[200:201], v[222:223], -v[200:201]
	v_add_f64_e32 v[194:195], v[243:244], v[202:203]
	v_add_f64_e64 v[202:203], v[243:244], -v[202:203]
	v_add_f64_e32 v[210:211], v[144:145], v[0:1]
	v_add_f64_e64 v[222:223], v[144:145], -v[0:1]
	v_fma_f64 v[0:1], v[230:231], s[18:19], v[174:175]
	v_fma_f64 v[2:3], v[228:229], s[2:3], v[2:3]
	;; [unrolled: 1-line block ×4, first 2 shown]
	v_fma_f64 v[146:147], v[146:147], -0.5, v[84:85]
	v_add_f64_e32 v[204:205], v[180:181], v[186:187]
	v_add_f64_e64 v[212:213], v[180:181], -v[186:187]
	v_add_f64_e64 v[186:187], v[94:95], -v[98:99]
	v_fma_f64 v[182:183], v[184:185], s[18:19], v[162:163]
	v_fma_f64 v[0:1], v[232:233], s[8:9], v[0:1]
	;; [unrolled: 1-line block ×5, first 2 shown]
	v_add_f64_e64 v[156:157], v[82:83], -v[88:89]
	v_add_f64_e64 v[172:173], v[78:79], -v[80:81]
	v_fma_f64 v[182:183], v[186:187], s[8:9], v[182:183]
	v_fma_f64 v[0:1], v[166:167], s[10:11], v[0:1]
	v_add_f64_e64 v[166:167], v[38:39], -v[66:67]
	s_delay_alu instid0(VALU_DEP_2) | instskip(NEXT) | instid1(VALU_DEP_2)
	v_mul_f64_e32 v[144:145], s[20:21], v[0:1]
	v_fma_f64 v[174:175], v[166:167], s[16:17], v[146:147]
	s_delay_alu instid0(VALU_DEP_2) | instskip(SKIP_1) | instid1(VALU_DEP_3)
	v_fma_f64 v[144:145], v[2:3], s[2:3], -v[144:145]
	v_mul_f64_e32 v[2:3], s[20:21], v[2:3]
	v_fma_f64 v[174:175], v[172:173], s[2:3], v[174:175]
	s_delay_alu instid0(VALU_DEP_3) | instskip(NEXT) | instid1(VALU_DEP_3)
	v_add_f64_e32 v[216:217], v[36:37], v[144:145]
	v_fma_f64 v[0:1], v[0:1], s[8:9], -v[2:3]
	v_add_f64_e64 v[2:3], v[102:103], -v[98:99]
	v_add_f64_e64 v[224:225], v[36:37], -v[144:145]
	;; [unrolled: 1-line block ×4, first 2 shown]
	v_add_f64_e32 v[218:219], v[142:143], v[0:1]
	v_add_f64_e64 v[226:227], v[142:143], -v[0:1]
	v_add_f64_e64 v[0:1], v[90:91], -v[94:95]
	;; [unrolled: 1-line block ×5, first 2 shown]
	s_delay_alu instid0(VALU_DEP_4) | instskip(SKIP_1) | instid1(VALU_DEP_1)
	v_add_f64_e32 v[0:1], v[0:1], v[2:3]
	v_add_f64_e64 v[2:3], v[92:93], -v[96:97]
	v_add_f64_e32 v[2:3], v[2:3], v[36:37]
	v_add_f64_e64 v[36:37], v[64:65], -v[82:83]
	v_add_f64_e64 v[82:83], v[82:83], -v[64:65]
	v_add_f64_e32 v[64:65], v[64:65], v[76:77]
	v_add_f64_e64 v[76:77], v[88:89], -v[76:77]
	v_fma_f64 v[88:89], v[186:187], s[16:17], v[164:165]
	v_fma_f64 v[182:183], v[2:3], s[10:11], v[182:183]
	v_add_f64_e32 v[36:37], v[36:37], v[142:143]
	v_add_f64_e64 v[142:143], v[38:39], -v[78:79]
	v_fma_f64 v[64:65], v[64:65], -0.5, v[84:85]
	v_add_f64_e32 v[76:77], v[82:83], v[76:77]
	v_fma_f64 v[88:89], v[184:185], s[8:9], v[88:89]
	v_fma_f64 v[174:175], v[36:37], s[10:11], v[174:175]
	v_add_f64_e32 v[142:143], v[142:143], v[144:145]
	v_add_f64_e32 v[144:145], v[78:79], v[80:81]
	v_add_f64_e64 v[78:79], v[78:79], -v[38:39]
	v_add_f64_e32 v[38:39], v[38:39], v[66:67]
	v_add_f64_e64 v[66:67], v[80:81], -v[66:67]
	v_fma_f64 v[82:83], v[172:173], s[18:19], v[64:65]
	v_fma_f64 v[64:65], v[172:173], s[16:17], v[64:65]
	v_add_f64_e32 v[80:81], v[90:91], v[94:95]
	v_fma_f64 v[144:145], v[144:145], -0.5, v[86:87]
	v_fma_f64 v[38:39], v[38:39], -0.5, v[86:87]
	v_add_f64_e32 v[66:67], v[78:79], v[66:67]
	v_fma_f64 v[82:83], v[166:167], s[2:3], v[82:83]
	v_fma_f64 v[64:65], v[166:167], s[8:9], v[64:65]
	;; [unrolled: 1-line block ×11, first 2 shown]
	s_delay_alu instid0(VALU_DEP_4) | instskip(NEXT) | instid1(VALU_DEP_4)
	v_fma_f64 v[76:77], v[184:185], s[2:3], v[76:77]
	v_fma_f64 v[158:159], v[142:143], s[10:11], v[158:159]
	s_delay_alu instid0(VALU_DEP_4) | instskip(NEXT) | instid1(VALU_DEP_4)
	v_fma_f64 v[78:79], v[66:67], s[10:11], v[78:79]
	v_fma_f64 v[38:39], v[66:67], s[10:11], v[38:39]
	v_fma_f64 v[66:67], v[178:179], s[16:17], v[160:161]
	s_delay_alu instid0(VALU_DEP_4) | instskip(NEXT) | instid1(VALU_DEP_4)
	v_mul_f64_e32 v[176:177], s[2:3], v[158:159]
	v_mul_f64_e32 v[86:87], s[16:17], v[78:79]
	s_delay_alu instid0(VALU_DEP_2) | instskip(SKIP_1) | instid1(VALU_DEP_3)
	v_fma_f64 v[176:177], v[174:175], s[20:21], v[176:177]
	v_mul_f64_e32 v[174:175], s[8:9], v[174:175]
	v_fma_f64 v[86:87], v[82:83], s[10:11], v[86:87]
	v_mul_f64_e32 v[82:83], s[18:19], v[82:83]
	s_delay_alu instid0(VALU_DEP_3)
	v_fma_f64 v[158:159], v[158:159], s[20:21], v[174:175]
	v_add_f64_e64 v[174:175], v[92:93], -v[140:141]
	v_add_f64_e64 v[92:93], v[96:97], -v[92:93]
	;; [unrolled: 1-line block ×3, first 2 shown]
	v_fma_f64 v[78:79], v[78:79], s[10:11], v[82:83]
	v_fma_f64 v[82:83], v[178:179], s[18:19], v[160:161]
	v_add_f64_e32 v[230:231], v[182:183], v[158:159]
	v_fma_f64 v[66:67], v[174:175], s[8:9], v[66:67]
	v_fma_f64 v[180:181], v[174:175], s[16:17], v[150:151]
	v_add_f64_e32 v[84:85], v[92:93], v[96:97]
	v_add_f64_e64 v[182:183], v[182:183], -v[158:159]
	v_fma_f64 v[82:83], v[174:175], s[2:3], v[82:83]
	v_fma_f64 v[66:67], v[80:81], s[10:11], v[66:67]
	;; [unrolled: 1-line block ×6, first 2 shown]
	s_delay_alu instid0(VALU_DEP_4) | instskip(NEXT) | instid1(VALU_DEP_4)
	v_fma_f64 v[180:181], v[0:1], s[10:11], v[180:181]
	v_add_f64_e32 v[238:239], v[88:89], v[78:79]
	v_add_f64_e64 v[6:7], v[88:89], -v[78:79]
	v_mul_f64_e32 v[78:79], s[10:11], v[64:65]
	v_add_f64_e64 v[4:5], v[82:83], -v[86:87]
	scratch_store_b128 off, v[8:11], off offset:312 ; 16-byte Folded Spill
	v_add_f64_e32 v[236:237], v[82:83], v[86:87]
	v_add_f64_e32 v[228:229], v[180:181], v[176:177]
	v_add_f64_e64 v[180:181], v[180:181], -v[176:177]
	v_fma_f64 v[78:79], v[38:39], s[16:17], -v[78:79]
	scratch_store_b128 off, v[4:7], off offset:28 ; 16-byte Folded Spill
	v_mul_f64_e32 v[38:39], s[10:11], v[38:39]
	v_add_f64_e32 v[232:233], v[66:67], v[78:79]
	v_add_f64_e64 v[4:5], v[66:67], -v[78:79]
	s_delay_alu instid0(VALU_DEP_3) | instskip(SKIP_2) | instid1(VALU_DEP_3)
	v_fma_f64 v[38:39], v[64:65], s[18:19], -v[38:39]
	v_fma_f64 v[64:65], v[148:149], s[16:17], v[144:145]
	v_fma_f64 v[66:67], v[174:175], s[18:19], v[150:151]
	v_add_f64_e32 v[234:235], v[76:77], v[38:39]
	v_add_f64_e64 v[6:7], v[76:77], -v[38:39]
	v_fma_f64 v[38:39], v[166:167], s[18:19], v[146:147]
	v_fma_f64 v[64:65], v[156:157], s[2:3], v[64:65]
	v_fma_f64 v[76:77], v[184:185], s[16:17], v[162:163]
	v_fma_f64 v[66:67], v[178:179], s[8:9], v[66:67]
	s_delay_alu instid0(VALU_DEP_4) | instskip(NEXT) | instid1(VALU_DEP_3)
	v_fma_f64 v[38:39], v[172:173], s[8:9], v[38:39]
	v_fma_f64 v[76:77], v[186:187], s[2:3], v[76:77]
	s_delay_alu instid0(VALU_DEP_3) | instskip(NEXT) | instid1(VALU_DEP_3)
	v_fma_f64 v[0:1], v[0:1], s[10:11], v[66:67]
	v_fma_f64 v[36:37], v[36:37], s[10:11], v[38:39]
	;; [unrolled: 1-line block ×3, first 2 shown]
	s_delay_alu instid0(VALU_DEP_4) | instskip(NEXT) | instid1(VALU_DEP_3)
	v_fma_f64 v[2:3], v[2:3], s[10:11], v[76:77]
	v_mul_f64_e32 v[64:65], s[20:21], v[36:37]
	s_delay_alu instid0(VALU_DEP_1) | instskip(SKIP_1) | instid1(VALU_DEP_2)
	v_fma_f64 v[64:65], v[38:39], s[2:3], -v[64:65]
	v_mul_f64_e32 v[38:39], s[20:21], v[38:39]
	v_add_f64_e32 v[184:185], v[0:1], v[64:65]
	s_delay_alu instid0(VALU_DEP_2) | instskip(SKIP_1) | instid1(VALU_DEP_2)
	v_fma_f64 v[36:37], v[36:37], s[8:9], -v[38:39]
	v_add_f64_e64 v[0:1], v[0:1], -v[64:65]
	v_add_f64_e32 v[186:187], v[2:3], v[36:37]
	v_add_f64_e64 v[2:3], v[2:3], -v[36:37]
	s_clause 0x1
	scratch_store_b128 off, v[4:7], off offset:12
	scratch_store_b128 off, v[0:3], off offset:44
	ds_store_b128 v240, v[152:155]
	ds_store_b128 v240, v[192:195] offset:3264
	ds_store_b128 v240, v[204:207] offset:6528
	;; [unrolled: 1-line block ×9, first 2 shown]
	s_and_saveexec_b32 s1, s0
	s_cbranch_execz .LBB0_11
; %bb.10:
	ds_store_b128 v240, v[196:199] offset:2720
	ds_store_b128 v240, v[228:231] offset:5984
	;; [unrolled: 1-line block ×7, first 2 shown]
	scratch_load_b128 v[0:3], off, off offset:28 ; 16-byte Folded Reload
	s_wait_loadcnt 0x0
	ds_store_b128 v240, v[0:3] offset:25568
	scratch_load_b128 v[0:3], off, off offset:12 ; 16-byte Folded Reload
	s_wait_loadcnt 0x0
	ds_store_b128 v240, v[0:3] offset:28832
	scratch_load_b128 v[0:3], off, off offset:44 ; 16-byte Folded Reload
	s_wait_loadcnt 0x0
	ds_store_b128 v240, v[0:3] offset:32096
.LBB0_11:
	s_wait_alu 0xfffe
	s_or_b32 exec_lo, exec_lo, s1
	global_wb scope:SCOPE_SE
	s_wait_storecnt_dscnt 0x0
	s_barrier_signal -1
	s_barrier_wait -1
	global_inv scope:SCOPE_SE
	s_and_saveexec_b32 s1, vcc_lo
	s_cbranch_execz .LBB0_13
; %bb.12:
	global_load_b128 v[0:3], v255, s[12:13] offset:32640
	s_add_nc_u64 s[2:3], s[12:13], 0x7f80
	s_clause 0x6
	global_load_b128 v[36:39], v255, s[2:3] offset:1920
	global_load_b128 v[64:67], v255, s[2:3] offset:3840
	global_load_b128 v[76:79], v255, s[2:3] offset:5760
	global_load_b128 v[80:83], v255, s[2:3] offset:7680
	global_load_b128 v[84:87], v255, s[2:3] offset:9600
	global_load_b128 v[88:91], v255, s[2:3] offset:11520
	global_load_b128 v[92:95], v255, s[2:3] offset:13440
	ds_load_b128 v[96:99], v240
	s_clause 0x1
	global_load_b128 v[100:103], v255, s[2:3] offset:15360
	global_load_b128 v[156:159], v255, s[2:3] offset:21120
	s_wait_loadcnt_dscnt 0x900
	v_mul_f64_e32 v[140:141], v[98:99], v[2:3]
	v_mul_f64_e32 v[2:3], v[96:97], v[2:3]
	s_delay_alu instid0(VALU_DEP_2) | instskip(NEXT) | instid1(VALU_DEP_2)
	v_fma_f64 v[96:97], v[96:97], v[0:1], -v[140:141]
	v_fma_f64 v[98:99], v[98:99], v[0:1], v[2:3]
	s_clause 0x1
	global_load_b128 v[0:3], v255, s[2:3] offset:17280
	global_load_b128 v[140:143], v255, s[2:3] offset:19200
	ds_store_b128 v240, v[96:99]
	ds_load_b128 v[96:99], v255 offset:1920
	ds_load_b128 v[144:147], v255 offset:3840
	;; [unrolled: 1-line block ×3, first 2 shown]
	s_wait_loadcnt_dscnt 0xa02
	v_mul_f64_e32 v[160:161], v[98:99], v[38:39]
	v_mul_f64_e32 v[38:39], v[96:97], v[38:39]
	s_wait_loadcnt_dscnt 0x901
	v_mul_f64_e32 v[162:163], v[146:147], v[66:67]
	v_mul_f64_e32 v[66:67], v[144:145], v[66:67]
	s_delay_alu instid0(VALU_DEP_4) | instskip(NEXT) | instid1(VALU_DEP_4)
	v_fma_f64 v[96:97], v[96:97], v[36:37], -v[160:161]
	v_fma_f64 v[98:99], v[98:99], v[36:37], v[38:39]
	ds_load_b128 v[36:39], v255 offset:7680
	s_wait_loadcnt_dscnt 0x801
	v_mul_f64_e32 v[160:161], v[150:151], v[78:79]
	v_mul_f64_e32 v[78:79], v[148:149], v[78:79]
	v_fma_f64 v[144:145], v[144:145], v[64:65], -v[162:163]
	v_fma_f64 v[146:147], v[146:147], v[64:65], v[66:67]
	global_load_b128 v[64:67], v255, s[2:3] offset:23040
	s_wait_loadcnt_dscnt 0x800
	v_mul_f64_e32 v[164:165], v[38:39], v[82:83]
	v_mul_f64_e32 v[82:83], v[36:37], v[82:83]
	v_fma_f64 v[148:149], v[148:149], v[76:77], -v[160:161]
	v_fma_f64 v[150:151], v[150:151], v[76:77], v[78:79]
	ds_load_b128 v[76:79], v255 offset:9600
	ds_load_b128 v[160:163], v255 offset:11520
	v_fma_f64 v[36:37], v[36:37], v[80:81], -v[164:165]
	v_fma_f64 v[38:39], v[38:39], v[80:81], v[82:83]
	global_load_b128 v[80:83], v255, s[2:3] offset:24960
	s_wait_loadcnt_dscnt 0x801
	v_mul_f64_e32 v[164:165], v[78:79], v[86:87]
	v_mul_f64_e32 v[86:87], v[76:77], v[86:87]
	s_delay_alu instid0(VALU_DEP_2) | instskip(SKIP_3) | instid1(VALU_DEP_4)
	v_fma_f64 v[76:77], v[76:77], v[84:85], -v[164:165]
	s_wait_loadcnt_dscnt 0x700
	v_mul_f64_e32 v[164:165], v[162:163], v[90:91]
	v_mul_f64_e32 v[90:91], v[160:161], v[90:91]
	v_fma_f64 v[78:79], v[78:79], v[84:85], v[86:87]
	ds_load_b128 v[84:87], v255 offset:13440
	v_fma_f64 v[160:161], v[160:161], v[88:89], -v[164:165]
	v_fma_f64 v[162:163], v[162:163], v[88:89], v[90:91]
	ds_load_b128 v[88:91], v255 offset:15360
	s_wait_loadcnt_dscnt 0x601
	v_mul_f64_e32 v[164:165], v[86:87], v[94:95]
	v_mul_f64_e32 v[94:95], v[84:85], v[94:95]
	s_delay_alu instid0(VALU_DEP_2) | instskip(SKIP_3) | instid1(VALU_DEP_4)
	v_fma_f64 v[84:85], v[84:85], v[92:93], -v[164:165]
	s_wait_loadcnt_dscnt 0x500
	v_mul_f64_e32 v[164:165], v[90:91], v[102:103]
	v_mul_f64_e32 v[102:103], v[88:89], v[102:103]
	v_fma_f64 v[86:87], v[86:87], v[92:93], v[94:95]
	ds_load_b128 v[92:95], v255 offset:17280
	v_fma_f64 v[88:89], v[88:89], v[100:101], -v[164:165]
	v_fma_f64 v[90:91], v[90:91], v[100:101], v[102:103]
	ds_load_b128 v[100:103], v255 offset:19200
	;; [unrolled: 13-line block ×3, first 2 shown]
	s_wait_dscnt 0x1
	v_mul_f64_e32 v[164:165], v[2:3], v[158:159]
	v_mul_f64_e32 v[158:159], v[0:1], v[158:159]
	s_delay_alu instid0(VALU_DEP_2) | instskip(SKIP_3) | instid1(VALU_DEP_4)
	v_fma_f64 v[0:1], v[0:1], v[156:157], -v[164:165]
	s_wait_loadcnt_dscnt 0x100
	v_mul_f64_e32 v[164:165], v[142:143], v[66:67]
	v_mul_f64_e32 v[66:67], v[140:141], v[66:67]
	v_fma_f64 v[2:3], v[2:3], v[156:157], v[158:159]
	ds_load_b128 v[156:159], v255 offset:24960
	v_fma_f64 v[140:141], v[140:141], v[64:65], -v[164:165]
	v_fma_f64 v[142:143], v[142:143], v[64:65], v[66:67]
	ds_load_b128 v[64:67], v255 offset:26880
	s_wait_loadcnt_dscnt 0x1
	v_mul_f64_e32 v[164:165], v[158:159], v[82:83]
	v_mul_f64_e32 v[82:83], v[156:157], v[82:83]
	s_delay_alu instid0(VALU_DEP_2) | instskip(NEXT) | instid1(VALU_DEP_2)
	v_fma_f64 v[156:157], v[156:157], v[80:81], -v[164:165]
	v_fma_f64 v[158:159], v[158:159], v[80:81], v[82:83]
	s_clause 0x1
	global_load_b128 v[80:83], v255, s[2:3] offset:26880
	global_load_b128 v[164:167], v255, s[2:3] offset:28800
	s_wait_loadcnt_dscnt 0x100
	v_mul_f64_e32 v[172:173], v[66:67], v[82:83]
	v_mul_f64_e32 v[82:83], v[64:65], v[82:83]
	s_delay_alu instid0(VALU_DEP_2) | instskip(NEXT) | instid1(VALU_DEP_2)
	v_fma_f64 v[64:65], v[64:65], v[80:81], -v[172:173]
	v_fma_f64 v[66:67], v[66:67], v[80:81], v[82:83]
	ds_load_b128 v[80:83], v255 offset:28800
	ds_load_b128 v[172:175], v255 offset:30720
	s_wait_loadcnt_dscnt 0x1
	v_mul_f64_e32 v[176:177], v[82:83], v[166:167]
	v_mul_f64_e32 v[166:167], v[80:81], v[166:167]
	s_delay_alu instid0(VALU_DEP_2) | instskip(NEXT) | instid1(VALU_DEP_2)
	v_fma_f64 v[80:81], v[80:81], v[164:165], -v[176:177]
	v_fma_f64 v[82:83], v[82:83], v[164:165], v[166:167]
	global_load_b128 v[164:167], v255, s[2:3] offset:30720
	s_wait_loadcnt_dscnt 0x0
	v_mul_f64_e32 v[176:177], v[174:175], v[166:167]
	v_mul_f64_e32 v[166:167], v[172:173], v[166:167]
	s_delay_alu instid0(VALU_DEP_2) | instskip(NEXT) | instid1(VALU_DEP_2)
	v_fma_f64 v[172:173], v[172:173], v[164:165], -v[176:177]
	v_fma_f64 v[174:175], v[174:175], v[164:165], v[166:167]
	ds_store_b128 v255, v[96:99] offset:1920
	ds_store_b128 v255, v[144:147] offset:3840
	;; [unrolled: 1-line block ×16, first 2 shown]
.LBB0_13:
	s_wait_alu 0xfffe
	s_or_b32 exec_lo, exec_lo, s1
	global_wb scope:SCOPE_SE
	s_wait_dscnt 0x0
	s_barrier_signal -1
	s_barrier_wait -1
	global_inv scope:SCOPE_SE
	s_and_saveexec_b32 s1, vcc_lo
	s_cbranch_execz .LBB0_15
; %bb.14:
	ds_load_b128 v[152:155], v240
	ds_load_b128 v[192:195], v240 offset:1920
	ds_load_b128 v[204:207], v240 offset:3840
	;; [unrolled: 1-line block ×16, first 2 shown]
.LBB0_15:
	s_wait_alu 0xfffe
	s_or_b32 exec_lo, exec_lo, s1
	s_wait_dscnt 0x0
	v_add_f64_e64 v[82:83], v[194:195], -v[182:183]
	s_mov_b32 s16, 0x5d8e7cdc
	s_mov_b32 s17, 0xbfd71e95
	v_add_f64_e32 v[80:81], v[180:181], v[192:193]
	v_add_f64_e64 v[243:244], v[206:207], -v[170:171]
	s_mov_b32 s2, 0x370991
	s_mov_b32 s10, 0x2a9d6da3
	;; [unrolled: 1-line block ×4, first 2 shown]
	v_add_f64_e32 v[241:242], v[168:169], v[204:205]
	s_mov_b32 s8, 0x75d4884
	s_mov_b32 s9, 0x3fe7a5f6
	v_add_f64_e64 v[150:151], v[192:193], -v[180:181]
	v_add_f64_e32 v[253:254], v[170:171], v[206:207]
	v_add_f64_e64 v[249:250], v[204:205], -v[168:169]
	s_mov_b32 s20, 0x7c9e640b
	s_mov_b32 s21, 0xbfeca52d
	v_add_f64_e32 v[245:246], v[208:209], v[184:185]
	s_mov_b32 s18, 0x2b2883cd
	s_mov_b32 s19, 0x3fdc86fa
	v_add_f64_e64 v[251:252], v[208:209], -v[184:185]
	v_add_f64_e64 v[76:77], v[218:219], -v[234:235]
	s_mov_b32 s24, 0xeb564b22
	s_mov_b32 s25, 0xbfefdd0d
	v_add_f64_e32 v[247:248], v[216:217], v[232:233]
	s_mov_b32 s22, 0x3259b75e
	s_mov_b32 s23, 0x3fb79ee6
	v_add_f64_e32 v[78:79], v[218:219], v[234:235]
	v_add_f64_e64 v[140:141], v[190:191], -v[238:239]
	s_mov_b32 s28, 0x923c349f
	s_mov_b32 s29, 0xbfeec746
	;; [unrolled: 1-line block ×4, first 2 shown]
	v_add_f64_e32 v[88:89], v[238:239], v[190:191]
	v_add_f64_e64 v[96:97], v[202:203], -v[230:231]
	s_mov_b32 s34, 0x6c9a05f6
	s_mov_b32 s35, 0xbfe9895b
	;; [unrolled: 1-line block ×3, first 2 shown]
	s_wait_alu 0xfffe
	v_mul_f64_e32 v[18:19], s[16:17], v[82:83]
	s_mov_b32 s31, 0xbfe348c8
	v_add_f64_e32 v[144:145], v[230:231], v[202:203]
	v_add_f64_e64 v[100:101], v[214:215], -v[198:199]
	v_mul_f64_e32 v[4:5], s[10:11], v[243:244]
	s_mov_b32 s44, 0x4363dd80
	s_mov_b32 s45, 0x3fe0d888
	;; [unrolled: 1-line block ×3, first 2 shown]
	s_wait_alu 0xfffe
	s_mov_b32 s38, s44
	v_add_f64_e32 v[142:143], v[212:213], v[196:197]
	s_mov_b32 s36, 0x910ea3b9
	s_mov_b32 s37, 0xbfeb34fa
	v_add_f64_e32 v[98:99], v[214:215], v[198:199]
	v_mul_f64_e32 v[6:7], s[8:9], v[253:254]
	v_add_f64_e64 v[148:149], v[222:223], -v[226:227]
	s_mov_b32 s42, 0xacd6c6b4
	s_mov_b32 s43, 0xbfc7851a
	;; [unrolled: 1-line block ×4, first 2 shown]
	v_add_f64_e64 v[146:147], v[220:221], -v[224:225]
	v_mul_f64_e32 v[34:35], s[24:25], v[243:244]
	v_mul_f64_e32 v[12:13], s[24:25], v[76:77]
	v_mul_f64_e32 v[44:45], s[22:23], v[253:254]
	v_mul_f64_e32 v[164:165], s[34:35], v[243:244]
	v_mul_f64_e32 v[166:167], s[30:31], v[253:254]
	s_wait_alu 0xfffe
	v_mul_f64_e32 v[172:173], s[42:43], v[243:244]
	s_mov_b32 s49, 0x3feec746
	v_mul_f64_e32 v[14:15], s[22:23], v[78:79]
	v_mul_f64_e32 v[16:17], s[28:29], v[140:141]
	s_mov_b32 s48, s28
	s_mov_b32 s47, 0x3feca52d
	s_mov_b32 s46, s20
	v_mul_f64_e32 v[174:175], s[40:41], v[253:254]
	v_mul_f64_e32 v[20:21], s[26:27], v[88:89]
	;; [unrolled: 1-line block ×3, first 2 shown]
	s_mov_b32 s53, 0x3fd71e95
	s_mov_b32 s52, s16
	;; [unrolled: 1-line block ×3, first 2 shown]
	v_fma_f64 v[0:1], v[80:81], s[2:3], -v[18:19]
	s_mov_b32 s56, s42
	v_mul_f64_e32 v[24:25], s[30:31], v[144:145]
	v_mul_f64_e32 v[26:27], s[38:39], v[100:101]
	v_fma_f64 v[2:3], v[241:242], s[8:9], -v[4:5]
	s_mov_b32 s51, 0x3fe58eea
	s_mov_b32 s50, s10
	;; [unrolled: 1-line block ×6, first 2 shown]
	v_mul_f64_e32 v[28:29], s[36:37], v[98:99]
	v_fma_f64 v[38:39], v[249:250], s[10:11], v[6:7]
	v_mul_f64_e32 v[30:31], s[42:43], v[148:149]
	v_fma_f64 v[160:161], v[241:242], s[22:23], -v[34:35]
	v_fma_f64 v[162:163], v[249:250], s[24:25], v[44:45]
	scratch_store_b64 off, v[164:165], off offset:440 ; 8-byte Folded Spill
	v_fma_f64 v[164:165], v[241:242], s[30:31], -v[164:165]
	scratch_store_b64 off, v[172:173], off offset:520 ; 8-byte Folded Spill
	v_fma_f64 v[172:173], v[241:242], s[40:41], -v[172:173]
	scratch_store_b64 off, v[166:167], off offset:512 ; 8-byte Folded Spill
	v_fma_f64 v[166:167], v[249:250], s[34:35], v[166:167]
	scratch_store_b64 off, v[174:175], off offset:600 ; 8-byte Folded Spill
	v_fma_f64 v[174:175], v[249:250], s[42:43], v[174:175]
	v_add_f64_e32 v[0:1], v[152:153], v[0:1]
	s_delay_alu instid0(VALU_DEP_1) | instskip(SKIP_1) | instid1(VALU_DEP_1)
	v_add_f64_e32 v[2:3], v[2:3], v[0:1]
	v_add_f64_e32 v[0:1], v[182:183], v[194:195]
	v_mul_f64_e32 v[32:33], s[2:3], v[0:1]
	v_mul_f64_e32 v[40:41], s[8:9], v[0:1]
	s_delay_alu instid0(VALU_DEP_2) | instskip(SKIP_2) | instid1(VALU_DEP_1)
	v_fma_f64 v[36:37], v[150:151], s[16:17], v[32:33]
	scratch_store_b64 off, v[40:41], off offset:864 ; 8-byte Folded Spill
	v_add_f64_e32 v[36:37], v[154:155], v[36:37]
	v_add_f64_e32 v[64:65], v[38:39], v[36:37]
	v_add_f64_e64 v[38:39], v[210:211], -v[186:187]
	s_delay_alu instid0(VALU_DEP_1) | instskip(NEXT) | instid1(VALU_DEP_1)
	v_mul_f64_e32 v[8:9], s[20:21], v[38:39]
	v_fma_f64 v[36:37], v[245:246], s[18:19], -v[8:9]
	s_delay_alu instid0(VALU_DEP_1) | instskip(SKIP_1) | instid1(VALU_DEP_1)
	v_add_f64_e32 v[2:3], v[36:37], v[2:3]
	v_add_f64_e32 v[36:37], v[210:211], v[186:187]
	v_mul_f64_e32 v[10:11], s[18:19], v[36:37]
	v_mul_f64_e32 v[46:47], s[30:31], v[36:37]
	s_delay_alu instid0(VALU_DEP_2) | instskip(SKIP_3) | instid1(VALU_DEP_1)
	v_fma_f64 v[66:67], v[251:252], s[20:21], v[10:11]
	scratch_store_b64 off, v[46:47], off offset:448 ; 8-byte Folded Spill
	v_add_f64_e32 v[64:65], v[66:67], v[64:65]
	v_fma_f64 v[66:67], v[247:248], s[22:23], -v[12:13]
	v_add_f64_e32 v[2:3], v[66:67], v[2:3]
	v_add_f64_e64 v[66:67], v[216:217], -v[232:233]
	s_delay_alu instid0(VALU_DEP_1) | instskip(NEXT) | instid1(VALU_DEP_1)
	v_fma_f64 v[84:85], v[66:67], s[24:25], v[14:15]
	v_add_f64_e32 v[84:85], v[84:85], v[64:65]
	v_add_f64_e32 v[64:65], v[236:237], v[188:189]
	s_delay_alu instid0(VALU_DEP_1) | instskip(NEXT) | instid1(VALU_DEP_1)
	v_fma_f64 v[86:87], v[64:65], s[26:27], -v[16:17]
	v_add_f64_e32 v[2:3], v[86:87], v[2:3]
	v_add_f64_e64 v[86:87], v[188:189], -v[236:237]
	s_delay_alu instid0(VALU_DEP_1) | instskip(NEXT) | instid1(VALU_DEP_1)
	v_fma_f64 v[90:91], v[86:87], s[28:29], v[20:21]
	v_add_f64_e32 v[92:93], v[90:91], v[84:85]
	v_add_f64_e32 v[84:85], v[228:229], v[200:201]
	s_delay_alu instid0(VALU_DEP_1) | instskip(NEXT) | instid1(VALU_DEP_1)
	v_fma_f64 v[90:91], v[84:85], s[30:31], -v[22:23]
	v_add_f64_e32 v[2:3], v[90:91], v[2:3]
	v_add_f64_e64 v[90:91], v[200:201], -v[228:229]
	s_delay_alu instid0(VALU_DEP_1) | instskip(NEXT) | instid1(VALU_DEP_1)
	v_fma_f64 v[94:95], v[90:91], s[34:35], v[24:25]
	v_add_f64_e32 v[92:93], v[94:95], v[92:93]
	v_fma_f64 v[94:95], v[142:143], s[36:37], -v[26:27]
	s_delay_alu instid0(VALU_DEP_1) | instskip(SKIP_1) | instid1(VALU_DEP_1)
	v_add_f64_e32 v[2:3], v[94:95], v[2:3]
	v_add_f64_e64 v[94:95], v[212:213], -v[196:197]
	v_fma_f64 v[102:103], v[94:95], s[38:39], v[28:29]
	s_delay_alu instid0(VALU_DEP_1) | instskip(SKIP_1) | instid1(VALU_DEP_1)
	v_add_f64_e32 v[158:159], v[102:103], v[92:93]
	v_add_f64_e32 v[92:93], v[220:221], v[224:225]
	v_fma_f64 v[102:103], v[92:93], s[40:41], -v[30:31]
	s_delay_alu instid0(VALU_DEP_1) | instskip(SKIP_1) | instid1(VALU_DEP_1)
	v_add_f64_e32 v[156:157], v[102:103], v[2:3]
	v_add_f64_e32 v[102:103], v[222:223], v[226:227]
	v_mul_f64_e32 v[42:43], s[40:41], v[102:103]
	s_delay_alu instid0(VALU_DEP_1) | instskip(NEXT) | instid1(VALU_DEP_1)
	v_fma_f64 v[2:3], v[146:147], s[42:43], v[42:43]
	v_add_f64_e32 v[158:159], v[2:3], v[158:159]
	v_mul_f64_e32 v[2:3], s[10:11], v[82:83]
	scratch_store_b64 off, v[2:3], off offset:856 ; 8-byte Folded Spill
	v_fma_f64 v[2:3], v[80:81], s[8:9], -v[2:3]
	s_delay_alu instid0(VALU_DEP_1) | instskip(NEXT) | instid1(VALU_DEP_1)
	v_add_f64_e32 v[2:3], v[152:153], v[2:3]
	v_add_f64_e32 v[2:3], v[160:161], v[2:3]
	v_fma_f64 v[160:161], v[150:151], s[10:11], v[40:41]
	v_mul_f64_e32 v[40:41], s[34:35], v[38:39]
	s_delay_alu instid0(VALU_DEP_2) | instskip(NEXT) | instid1(VALU_DEP_1)
	v_add_f64_e32 v[160:161], v[154:155], v[160:161]
	v_add_f64_e32 v[160:161], v[162:163], v[160:161]
	s_delay_alu instid0(VALU_DEP_3) | instskip(NEXT) | instid1(VALU_DEP_1)
	v_fma_f64 v[162:163], v[245:246], s[30:31], -v[40:41]
	v_add_f64_e32 v[2:3], v[162:163], v[2:3]
	v_fma_f64 v[162:163], v[251:252], s[34:35], v[46:47]
	v_mul_f64_e32 v[46:47], s[42:43], v[76:77]
	s_delay_alu instid0(VALU_DEP_2) | instskip(NEXT) | instid1(VALU_DEP_2)
	v_add_f64_e32 v[160:161], v[162:163], v[160:161]
	v_fma_f64 v[162:163], v[247:248], s[40:41], -v[46:47]
	s_delay_alu instid0(VALU_DEP_1) | instskip(SKIP_3) | instid1(VALU_DEP_1)
	v_add_f64_e32 v[2:3], v[162:163], v[2:3]
	v_mul_f64_e32 v[162:163], s[40:41], v[78:79]
	scratch_store_b64 off, v[162:163], off offset:488 ; 8-byte Folded Spill
	v_fma_f64 v[162:163], v[66:67], s[42:43], v[162:163]
	v_add_f64_e32 v[160:161], v[162:163], v[160:161]
	v_mul_f64_e32 v[162:163], s[44:45], v[140:141]
	scratch_store_b64 off, v[162:163], off offset:456 ; 8-byte Folded Spill
	v_fma_f64 v[162:163], v[64:65], s[36:37], -v[162:163]
	s_delay_alu instid0(VALU_DEP_1) | instskip(SKIP_3) | instid1(VALU_DEP_1)
	v_add_f64_e32 v[2:3], v[162:163], v[2:3]
	v_mul_f64_e32 v[162:163], s[36:37], v[88:89]
	scratch_store_b64 off, v[162:163], off offset:536 ; 8-byte Folded Spill
	v_fma_f64 v[162:163], v[86:87], s[44:45], v[162:163]
	v_add_f64_e32 v[160:161], v[162:163], v[160:161]
	s_wait_alu 0xfffe
	v_mul_f64_e32 v[162:163], s[48:49], v[96:97]
	scratch_store_b64 off, v[162:163], off offset:528 ; 8-byte Folded Spill
	v_fma_f64 v[162:163], v[84:85], s[26:27], -v[162:163]
	s_delay_alu instid0(VALU_DEP_1) | instskip(SKIP_3) | instid1(VALU_DEP_1)
	v_add_f64_e32 v[2:3], v[162:163], v[2:3]
	v_mul_f64_e32 v[162:163], s[26:27], v[144:145]
	scratch_store_b64 off, v[162:163], off offset:616 ; 8-byte Folded Spill
	v_fma_f64 v[162:163], v[90:91], s[48:49], v[162:163]
	v_add_f64_e32 v[160:161], v[162:163], v[160:161]
	v_mul_f64_e32 v[162:163], s[46:47], v[100:101]
	scratch_store_b64 off, v[162:163], off offset:464 ; 8-byte Folded Spill
	v_fma_f64 v[162:163], v[142:143], s[18:19], -v[162:163]
	s_delay_alu instid0(VALU_DEP_1) | instskip(SKIP_3) | instid1(VALU_DEP_1)
	v_add_f64_e32 v[2:3], v[162:163], v[2:3]
	v_mul_f64_e32 v[162:163], s[18:19], v[98:99]
	scratch_store_b64 off, v[162:163], off offset:504 ; 8-byte Folded Spill
	v_fma_f64 v[162:163], v[94:95], s[46:47], v[162:163]
	v_add_f64_e32 v[162:163], v[162:163], v[160:161]
	;; [unrolled: 9-line block ×3, first 2 shown]
	v_mul_f64_e32 v[2:3], s[20:21], v[82:83]
	scratch_store_b64 off, v[2:3], off offset:872 ; 8-byte Folded Spill
	v_fma_f64 v[2:3], v[80:81], s[18:19], -v[2:3]
	s_delay_alu instid0(VALU_DEP_1) | instskip(NEXT) | instid1(VALU_DEP_1)
	v_add_f64_e32 v[2:3], v[152:153], v[2:3]
	v_add_f64_e32 v[2:3], v[164:165], v[2:3]
	v_mul_f64_e32 v[164:165], s[18:19], v[0:1]
	scratch_store_b64 off, v[164:165], off offset:880 ; 8-byte Folded Spill
	v_fma_f64 v[164:165], v[150:151], s[20:21], v[164:165]
	s_delay_alu instid0(VALU_DEP_1) | instskip(NEXT) | instid1(VALU_DEP_1)
	v_add_f64_e32 v[164:165], v[154:155], v[164:165]
	v_add_f64_e32 v[164:165], v[166:167], v[164:165]
	v_mul_f64_e32 v[166:167], s[56:57], v[38:39]
	scratch_store_b64 off, v[166:167], off offset:480 ; 8-byte Folded Spill
	v_fma_f64 v[166:167], v[245:246], s[40:41], -v[166:167]
	s_delay_alu instid0(VALU_DEP_1) | instskip(SKIP_3) | instid1(VALU_DEP_1)
	v_add_f64_e32 v[2:3], v[166:167], v[2:3]
	v_mul_f64_e32 v[166:167], s[40:41], v[36:37]
	scratch_store_b64 off, v[166:167], off offset:560 ; 8-byte Folded Spill
	v_fma_f64 v[166:167], v[251:252], s[56:57], v[166:167]
	v_add_f64_e32 v[164:165], v[166:167], v[164:165]
	v_mul_f64_e32 v[166:167], s[48:49], v[76:77]
	scratch_store_b64 off, v[166:167], off offset:496 ; 8-byte Folded Spill
	v_fma_f64 v[166:167], v[247:248], s[26:27], -v[166:167]
	s_delay_alu instid0(VALU_DEP_1) | instskip(SKIP_3) | instid1(VALU_DEP_1)
	v_add_f64_e32 v[2:3], v[166:167], v[2:3]
	v_mul_f64_e32 v[166:167], s[26:27], v[78:79]
	scratch_store_b64 off, v[166:167], off offset:624 ; 8-byte Folded Spill
	v_fma_f64 v[166:167], v[66:67], s[48:49], v[166:167]
	;; [unrolled: 9-line block ×6, first 2 shown]
	v_add_f64_e32 v[166:167], v[2:3], v[166:167]
	v_mul_f64_e32 v[2:3], s[24:25], v[82:83]
	scratch_store_b64 off, v[2:3], off offset:888 ; 8-byte Folded Spill
	v_fma_f64 v[2:3], v[80:81], s[22:23], -v[2:3]
	s_delay_alu instid0(VALU_DEP_1) | instskip(NEXT) | instid1(VALU_DEP_1)
	v_add_f64_e32 v[2:3], v[152:153], v[2:3]
	v_add_f64_e32 v[2:3], v[172:173], v[2:3]
	v_mul_f64_e32 v[172:173], s[22:23], v[0:1]
	scratch_store_b64 off, v[172:173], off offset:896 ; 8-byte Folded Spill
	v_fma_f64 v[172:173], v[150:151], s[24:25], v[172:173]
	s_delay_alu instid0(VALU_DEP_1) | instskip(NEXT) | instid1(VALU_DEP_1)
	v_add_f64_e32 v[172:173], v[154:155], v[172:173]
	v_add_f64_e32 v[172:173], v[174:175], v[172:173]
	v_mul_f64_e32 v[174:175], s[48:49], v[38:39]
	scratch_store_b64 off, v[174:175], off offset:568 ; 8-byte Folded Spill
	v_fma_f64 v[174:175], v[245:246], s[26:27], -v[174:175]
	s_delay_alu instid0(VALU_DEP_1) | instskip(SKIP_3) | instid1(VALU_DEP_1)
	v_add_f64_e32 v[2:3], v[174:175], v[2:3]
	v_mul_f64_e32 v[174:175], s[26:27], v[36:37]
	scratch_store_b64 off, v[174:175], off offset:672 ; 8-byte Folded Spill
	v_fma_f64 v[174:175], v[251:252], s[48:49], v[174:175]
	v_add_f64_e32 v[172:173], v[174:175], v[172:173]
	v_mul_f64_e32 v[174:175], s[52:53], v[76:77]
	scratch_store_b64 off, v[174:175], off offset:592 ; 8-byte Folded Spill
	v_fma_f64 v[174:175], v[247:248], s[2:3], -v[174:175]
	s_delay_alu instid0(VALU_DEP_1) | instskip(SKIP_3) | instid1(VALU_DEP_1)
	v_add_f64_e32 v[2:3], v[174:175], v[2:3]
	v_mul_f64_e32 v[174:175], s[2:3], v[78:79]
	scratch_store_b64 off, v[174:175], off offset:728 ; 8-byte Folded Spill
	v_fma_f64 v[174:175], v[66:67], s[52:53], v[174:175]
	;; [unrolled: 9-line block ×6, first 2 shown]
	v_add_f64_e32 v[178:179], v[2:3], v[172:173]
	v_mul_f64_e32 v[2:3], s[28:29], v[82:83]
	v_mul_f64_e32 v[172:173], s[44:45], v[243:244]
	s_clause 0x1
	scratch_store_b64 off, v[2:3], off offset:904
	scratch_store_b64 off, v[172:173], off offset:584
	v_fma_f64 v[2:3], v[80:81], s[26:27], -v[2:3]
	v_fma_f64 v[172:173], v[241:242], s[36:37], -v[172:173]
	s_delay_alu instid0(VALU_DEP_2) | instskip(NEXT) | instid1(VALU_DEP_1)
	v_add_f64_e32 v[2:3], v[152:153], v[2:3]
	v_add_f64_e32 v[172:173], v[172:173], v[2:3]
	v_mul_f64_e32 v[2:3], s[26:27], v[0:1]
	scratch_store_b64 off, v[2:3], off offset:912 ; 8-byte Folded Spill
	v_fma_f64 v[174:175], v[150:151], s[28:29], v[2:3]
	v_mul_f64_e32 v[2:3], s[36:37], v[253:254]
	s_delay_alu instid0(VALU_DEP_2) | instskip(SKIP_2) | instid1(VALU_DEP_1)
	v_add_f64_e32 v[174:175], v[154:155], v[174:175]
	scratch_store_b64 off, v[2:3], off offset:688 ; 8-byte Folded Spill
	v_fma_f64 v[2:3], v[249:250], s[44:45], v[2:3]
	v_add_f64_e32 v[2:3], v[2:3], v[174:175]
	v_mul_f64_e32 v[174:175], s[50:51], v[38:39]
	scratch_store_b64 off, v[174:175], off offset:648 ; 8-byte Folded Spill
	v_fma_f64 v[174:175], v[245:246], s[8:9], -v[174:175]
	s_delay_alu instid0(VALU_DEP_1) | instskip(SKIP_3) | instid1(VALU_DEP_1)
	v_add_f64_e32 v[172:173], v[174:175], v[172:173]
	v_mul_f64_e32 v[174:175], s[8:9], v[36:37]
	scratch_store_b64 off, v[174:175], off offset:752 ; 8-byte Folded Spill
	v_fma_f64 v[174:175], v[251:252], s[50:51], v[174:175]
	v_add_f64_e32 v[2:3], v[174:175], v[2:3]
	v_mul_f64_e32 v[174:175], s[20:21], v[76:77]
	scratch_store_b64 off, v[174:175], off offset:656 ; 8-byte Folded Spill
	v_fma_f64 v[174:175], v[247:248], s[18:19], -v[174:175]
	s_delay_alu instid0(VALU_DEP_1) | instskip(SKIP_3) | instid1(VALU_DEP_1)
	v_add_f64_e32 v[172:173], v[174:175], v[172:173]
	v_mul_f64_e32 v[174:175], s[18:19], v[78:79]
	;; [unrolled: 9-line block ×5, first 2 shown]
	scratch_store_b64 off, v[174:175], off offset:816 ; 8-byte Folded Spill
	v_fma_f64 v[174:175], v[94:95], s[16:17], v[174:175]
	v_add_f64_e32 v[2:3], v[174:175], v[2:3]
	v_mul_f64_e32 v[174:175], s[34:35], v[148:149]
	scratch_store_b64 off, v[174:175], off offset:744 ; 8-byte Folded Spill
	v_fma_f64 v[174:175], v[92:93], s[30:31], -v[174:175]
	s_delay_alu instid0(VALU_DEP_1)
	v_add_f64_e32 v[172:173], v[174:175], v[172:173]
	v_mul_f64_e32 v[174:175], s[30:31], v[102:103]
	scratch_store_b64 off, v[174:175], off offset:800 ; 8-byte Folded Spill
	v_fma_f64 v[174:175], v[146:147], s[34:35], v[174:175]
	global_wb scope:SCOPE_SE
	s_wait_storecnt 0x0
	s_barrier_signal -1
	s_barrier_wait -1
	global_inv scope:SCOPE_SE
	v_add_f64_e32 v[174:175], v[174:175], v[2:3]
	s_and_saveexec_b32 s1, vcc_lo
	s_cbranch_execz .LBB0_17
; %bb.16:
	v_add_f64_e32 v[2:3], v[154:155], v[194:195]
	v_add_f64_e32 v[192:193], v[152:153], v[192:193]
	scratch_load_b64 v[194:195], off, off offset:896 th:TH_LOAD_LU ; 8-byte Folded Reload
	v_add_f64_e32 v[2:3], v[206:207], v[2:3]
	v_add_f64_e32 v[192:193], v[204:205], v[192:193]
	v_mul_f64_e32 v[206:207], s[38:39], v[82:83]
	scratch_load_b64 v[204:205], off, off offset:856 th:TH_LOAD_LU ; 8-byte Folded Reload
	v_add_f64_e32 v[2:3], v[210:211], v[2:3]
	v_add_f64_e32 v[192:193], v[208:209], v[192:193]
	v_fma_f64 v[210:211], v[80:81], s[36:37], -v[206:207]
	v_fma_f64 v[206:207], v[80:81], s[36:37], v[206:207]
	s_delay_alu instid0(VALU_DEP_4) | instskip(NEXT) | instid1(VALU_DEP_4)
	v_add_f64_e32 v[2:3], v[218:219], v[2:3]
	v_add_f64_e32 v[192:193], v[216:217], v[192:193]
	s_delay_alu instid0(VALU_DEP_4) | instskip(NEXT) | instid1(VALU_DEP_4)
	v_add_f64_e32 v[210:211], v[152:153], v[210:211]
	v_add_f64_e32 v[206:207], v[152:153], v[206:207]
	v_dual_mov_b32 v219, v35 :: v_dual_mov_b32 v218, v34
	v_dual_mov_b32 v35, v29 :: v_dual_mov_b32 v34, v28
	;; [unrolled: 1-line block ×4, first 2 shown]
	v_add_f64_e32 v[2:3], v[190:191], v[2:3]
	v_add_f64_e32 v[188:189], v[188:189], v[192:193]
	s_clause 0x1
	scratch_load_b64 v[190:191], off, off offset:912 th:TH_LOAD_LU
	scratch_load_b64 v[192:193], off, off offset:904 th:TH_LOAD_LU
	v_add_f64_e32 v[2:3], v[202:203], v[2:3]
	v_add_f64_e32 v[188:189], v[200:201], v[188:189]
	s_clause 0x1
	scratch_load_b64 v[200:201], off, off offset:872 th:TH_LOAD_LU
	scratch_load_b64 v[202:203], off, off offset:864 th:TH_LOAD_LU
	v_add_f64_e32 v[2:3], v[214:215], v[2:3]
	v_add_f64_e32 v[188:189], v[212:213], v[188:189]
	s_delay_alu instid0(VALU_DEP_2) | instskip(NEXT) | instid1(VALU_DEP_2)
	v_add_f64_e32 v[2:3], v[222:223], v[2:3]
	v_add_f64_e32 v[188:189], v[220:221], v[188:189]
	s_delay_alu instid0(VALU_DEP_2) | instskip(NEXT) | instid1(VALU_DEP_2)
	;; [unrolled: 3-line block ×3, first 2 shown]
	v_add_f64_e32 v[2:3], v[198:199], v[2:3]
	v_add_f64_e32 v[188:189], v[196:197], v[188:189]
	s_clause 0x1
	scratch_load_b64 v[196:197], off, off offset:888 th:TH_LOAD_LU
	scratch_load_b64 v[198:199], off, off offset:880 th:TH_LOAD_LU
	v_add_f64_e32 v[2:3], v[230:231], v[2:3]
	v_add_f64_e32 v[188:189], v[228:229], v[188:189]
	v_mul_f64_e32 v[228:229], s[36:37], v[64:65]
	s_delay_alu instid0(VALU_DEP_3) | instskip(NEXT) | instid1(VALU_DEP_3)
	v_add_f64_e32 v[2:3], v[238:239], v[2:3]
	v_add_f64_e32 v[188:189], v[236:237], v[188:189]
	v_mul_f64_e32 v[236:237], s[54:55], v[146:147]
	v_mul_f64_e32 v[238:239], s[54:55], v[148:149]
	s_delay_alu instid0(VALU_DEP_4) | instskip(NEXT) | instid1(VALU_DEP_4)
	v_add_f64_e32 v[2:3], v[234:235], v[2:3]
	v_add_f64_e32 v[188:189], v[232:233], v[188:189]
	s_delay_alu instid0(VALU_DEP_2) | instskip(NEXT) | instid1(VALU_DEP_2)
	v_add_f64_e32 v[2:3], v[186:187], v[2:3]
	v_add_f64_e32 v[184:185], v[184:185], v[188:189]
	v_mul_f64_e32 v[186:187], s[34:35], v[150:151]
	s_delay_alu instid0(VALU_DEP_3) | instskip(NEXT) | instid1(VALU_DEP_3)
	v_add_f64_e32 v[2:3], v[170:171], v[2:3]
	v_add_f64_e32 v[168:169], v[168:169], v[184:185]
	s_delay_alu instid0(VALU_DEP_3) | instskip(NEXT) | instid1(VALU_DEP_3)
	v_fma_f64 v[188:189], v[0:1], s[30:31], v[186:187]
	v_add_f64_e32 v[170:171], v[182:183], v[2:3]
	v_mul_f64_e32 v[2:3], s[42:43], v[150:151]
	v_mul_f64_e32 v[182:183], s[38:39], v[150:151]
	v_add_f64_e32 v[168:169], v[180:181], v[168:169]
	s_delay_alu instid0(VALU_DEP_3) | instskip(SKIP_1) | instid1(VALU_DEP_4)
	v_fma_f64 v[180:181], v[0:1], s[40:41], v[2:3]
	v_fma_f64 v[2:3], v[0:1], s[40:41], -v[2:3]
	v_fma_f64 v[184:185], v[0:1], s[36:37], v[182:183]
	v_fma_f64 v[182:183], v[0:1], s[36:37], -v[182:183]
	v_fma_f64 v[0:1], v[0:1], s[30:31], -v[186:187]
	v_mul_f64_e32 v[186:187], s[28:29], v[150:151]
	v_add_f64_e32 v[180:181], v[154:155], v[180:181]
	v_add_f64_e32 v[214:215], v[154:155], v[2:3]
	v_add_f64_e32 v[2:3], v[154:155], v[188:189]
	v_add_f64_e32 v[216:217], v[154:155], v[182:183]
	v_add_f64_e32 v[220:221], v[154:155], v[0:1]
	s_wait_loadcnt 0x5
	v_add_f64_e64 v[186:187], v[190:191], -v[186:187]
	v_mul_f64_e32 v[190:191], s[26:27], v[80:81]
	v_add_f64_e32 v[184:185], v[154:155], v[184:185]
	scratch_store_b64 off, v[2:3], off offset:880 ; 8-byte Folded Spill
	v_add_f64_e32 v[224:225], v[154:155], v[186:187]
	s_wait_loadcnt 0x4
	v_add_f64_e32 v[190:191], v[190:191], v[192:193]
	v_mul_f64_e32 v[192:193], s[24:25], v[150:151]
	s_delay_alu instid0(VALU_DEP_2) | instskip(NEXT) | instid1(VALU_DEP_2)
	v_add_f64_e32 v[226:227], v[152:153], v[190:191]
	v_add_f64_e64 v[192:193], v[194:195], -v[192:193]
	v_mul_f64_e32 v[194:195], s[22:23], v[80:81]
	s_delay_alu instid0(VALU_DEP_2) | instskip(SKIP_1) | instid1(VALU_DEP_2)
	v_add_f64_e32 v[188:189], v[154:155], v[192:193]
	s_wait_loadcnt 0x1
	v_add_f64_e32 v[194:195], v[194:195], v[196:197]
	v_mul_f64_e32 v[196:197], s[20:21], v[150:151]
	s_delay_alu instid0(VALU_DEP_2) | instskip(SKIP_1) | instid1(VALU_DEP_2)
	v_add_f64_e32 v[190:191], v[152:153], v[194:195]
	s_wait_loadcnt 0x0
	v_add_f64_e64 v[196:197], v[198:199], -v[196:197]
	v_mul_f64_e32 v[198:199], s[18:19], v[80:81]
	s_delay_alu instid0(VALU_DEP_2) | instskip(NEXT) | instid1(VALU_DEP_2)
	v_add_f64_e32 v[186:187], v[154:155], v[196:197]
	v_add_f64_e32 v[198:199], v[198:199], v[200:201]
	v_mul_f64_e32 v[200:201], s[10:11], v[150:151]
	v_mul_f64_e32 v[150:151], s[16:17], v[150:151]
	s_delay_alu instid0(VALU_DEP_3) | instskip(NEXT) | instid1(VALU_DEP_3)
	v_add_f64_e32 v[192:193], v[152:153], v[198:199]
	v_add_f64_e64 v[200:201], v[202:203], -v[200:201]
	v_mul_f64_e32 v[202:203], s[8:9], v[80:81]
	s_delay_alu instid0(VALU_DEP_4)
	v_add_f64_e64 v[150:151], v[32:33], -v[150:151]
	v_dual_mov_b32 v33, v27 :: v_dual_mov_b32 v32, v26
	v_dual_mov_b32 v27, v13 :: v_dual_mov_b32 v26, v12
	;; [unrolled: 1-line block ×3, first 2 shown]
	v_mul_f64_e32 v[4:5], s[50:51], v[100:101]
	v_add_f64_e32 v[182:183], v[154:155], v[200:201]
	v_add_f64_e32 v[202:203], v[202:203], v[204:205]
	v_mul_f64_e32 v[204:205], s[42:43], v[82:83]
	v_mul_f64_e32 v[82:83], s[34:35], v[82:83]
	v_add_f64_e32 v[0:1], v[154:155], v[150:151]
	v_mul_f64_e32 v[150:151], s[38:39], v[251:252]
	v_dual_mov_b32 v155, v45 :: v_dual_mov_b32 v154, v44
	v_dual_mov_b32 v45, v31 :: v_dual_mov_b32 v44, v30
	;; [unrolled: 1-line block ×3, first 2 shown]
	v_mul_f64_e32 v[8:9], s[28:29], v[146:147]
	v_fma_f64 v[6:7], v[142:143], s[8:9], -v[4:5]
	v_fma_f64 v[4:5], v[142:143], s[8:9], v[4:5]
	v_add_f64_e32 v[194:195], v[152:153], v[202:203]
	v_fma_f64 v[208:209], v[80:81], s[40:41], -v[204:205]
	v_fma_f64 v[204:205], v[80:81], s[40:41], v[204:205]
	v_fma_f64 v[212:213], v[80:81], s[30:31], -v[82:83]
	v_fma_f64 v[82:83], v[80:81], s[30:31], v[82:83]
	v_mul_f64_e32 v[80:81], s[2:3], v[80:81]
	scratch_store_b64 off, v[0:1], off offset:856 ; 8-byte Folded Spill
	v_add_f64_e32 v[208:209], v[152:153], v[208:209]
	v_add_f64_e32 v[204:205], v[152:153], v[204:205]
	;; [unrolled: 1-line block ×5, first 2 shown]
	v_mul_f64_e32 v[82:83], s[52:53], v[243:244]
	v_dual_mov_b32 v19, v11 :: v_dual_mov_b32 v18, v10
	v_fma_f64 v[10:11], v[102:103], s[26:27], v[8:9]
	v_fma_f64 v[8:9], v[102:103], s[26:27], -v[8:9]
	scratch_load_b64 v[212:213], off, off offset:528 th:TH_LOAD_LU ; 8-byte Folded Reload
	scratch_store_b64 off, v[2:3], off offset:872 ; 8-byte Folded Spill
	v_add_f64_e32 v[0:1], v[152:153], v[80:81]
	v_mul_f64_e32 v[80:81], s[52:53], v[249:250]
	v_fma_f64 v[152:153], v[36:37], s[36:37], v[150:151]
	v_fma_f64 v[2:3], v[241:242], s[2:3], -v[82:83]
	v_fma_f64 v[82:83], v[241:242], s[2:3], v[82:83]
	v_fma_f64 v[150:151], v[36:37], s[36:37], -v[150:151]
	scratch_store_b64 off, v[0:1], off offset:864 ; 8-byte Folded Spill
	v_fma_f64 v[0:1], v[253:254], s[2:3], v[80:81]
	v_fma_f64 v[80:81], v[253:254], s[2:3], -v[80:81]
	v_add_f64_e32 v[2:3], v[2:3], v[208:209]
	v_add_f64_e32 v[82:83], v[82:83], v[204:205]
	v_mul_f64_e32 v[204:205], s[24:25], v[251:252]
	v_add_f64_e32 v[0:1], v[0:1], v[180:181]
	v_add_f64_e32 v[80:81], v[80:81], v[214:215]
	v_mul_f64_e32 v[214:215], s[58:59], v[76:77]
	s_delay_alu instid0(VALU_DEP_3) | instskip(SKIP_1) | instid1(VALU_DEP_4)
	v_add_f64_e32 v[0:1], v[152:153], v[0:1]
	v_mul_f64_e32 v[152:153], s[38:39], v[38:39]
	v_add_f64_e32 v[80:81], v[150:151], v[80:81]
	s_delay_alu instid0(VALU_DEP_2) | instskip(SKIP_2) | instid1(VALU_DEP_3)
	v_fma_f64 v[180:181], v[245:246], s[36:37], -v[152:153]
	v_fma_f64 v[150:151], v[245:246], s[36:37], v[152:153]
	v_fma_f64 v[152:153], v[92:93], s[22:23], v[238:239]
	v_add_f64_e32 v[2:3], v[180:181], v[2:3]
	v_mul_f64_e32 v[180:181], s[50:51], v[66:67]
	s_delay_alu instid0(VALU_DEP_4) | instskip(NEXT) | instid1(VALU_DEP_2)
	v_add_f64_e32 v[82:83], v[150:151], v[82:83]
	v_fma_f64 v[196:197], v[78:79], s[8:9], v[180:181]
	v_fma_f64 v[150:151], v[78:79], s[8:9], -v[180:181]
	v_fma_f64 v[180:181], v[36:37], s[22:23], v[204:205]
	s_delay_alu instid0(VALU_DEP_3) | instskip(SKIP_1) | instid1(VALU_DEP_4)
	v_add_f64_e32 v[0:1], v[196:197], v[0:1]
	v_mul_f64_e32 v[196:197], s[50:51], v[76:77]
	v_add_f64_e32 v[80:81], v[150:151], v[80:81]
	v_mul_f64_e32 v[76:77], s[38:39], v[76:77]
	s_delay_alu instid0(VALU_DEP_3)
	v_fma_f64 v[198:199], v[247:248], s[8:9], -v[196:197]
	v_fma_f64 v[150:151], v[247:248], s[8:9], v[196:197]
	scratch_load_b64 v[196:197], off, off offset:488 th:TH_LOAD_LU ; 8-byte Folded Reload
	v_add_f64_e32 v[2:3], v[198:199], v[2:3]
	v_mul_f64_e32 v[198:199], s[34:35], v[86:87]
	v_add_f64_e32 v[82:83], v[150:151], v[82:83]
	s_delay_alu instid0(VALU_DEP_2)
	v_fma_f64 v[200:201], v[88:89], s[30:31], v[198:199]
	v_fma_f64 v[150:151], v[88:89], s[30:31], -v[198:199]
	scratch_load_b64 v[198:199], off, off offset:448 th:TH_LOAD_LU ; 8-byte Folded Reload
	v_add_f64_e32 v[0:1], v[200:201], v[0:1]
	v_mul_f64_e32 v[200:201], s[34:35], v[140:141]
	v_add_f64_e32 v[80:81], v[150:151], v[80:81]
	s_delay_alu instid0(VALU_DEP_2) | instskip(SKIP_2) | instid1(VALU_DEP_3)
	v_fma_f64 v[202:203], v[64:65], s[30:31], -v[200:201]
	v_fma_f64 v[150:151], v[64:65], s[30:31], v[200:201]
	v_mul_f64_e32 v[200:201], s[46:47], v[249:250]
	v_add_f64_e32 v[2:3], v[202:203], v[2:3]
	v_mul_f64_e32 v[202:203], s[46:47], v[90:91]
	s_delay_alu instid0(VALU_DEP_4) | instskip(NEXT) | instid1(VALU_DEP_2)
	v_add_f64_e32 v[82:83], v[150:151], v[82:83]
	v_fma_f64 v[208:209], v[144:145], s[18:19], v[202:203]
	v_fma_f64 v[150:151], v[144:145], s[18:19], -v[202:203]
	v_mul_f64_e32 v[202:203], s[46:47], v[243:244]
	s_delay_alu instid0(VALU_DEP_3) | instskip(SKIP_1) | instid1(VALU_DEP_4)
	v_add_f64_e32 v[0:1], v[208:209], v[0:1]
	v_mul_f64_e32 v[208:209], s[46:47], v[96:97]
	v_add_f64_e32 v[80:81], v[150:151], v[80:81]
	s_delay_alu instid0(VALU_DEP_2) | instskip(SKIP_3) | instid1(VALU_DEP_4)
	v_fma_f64 v[230:231], v[84:85], s[18:19], -v[208:209]
	v_fma_f64 v[150:151], v[84:85], s[18:19], v[208:209]
	v_mul_f64_e32 v[208:209], s[24:25], v[38:39]
	v_mul_f64_e32 v[38:39], s[16:17], v[38:39]
	v_add_f64_e32 v[2:3], v[230:231], v[2:3]
	v_mul_f64_e32 v[230:231], s[28:29], v[94:95]
	v_add_f64_e32 v[82:83], v[150:151], v[82:83]
	s_delay_alu instid0(VALU_DEP_2) | instskip(SKIP_2) | instid1(VALU_DEP_3)
	v_fma_f64 v[232:233], v[98:99], s[26:27], v[230:231]
	v_fma_f64 v[150:151], v[98:99], s[26:27], -v[230:231]
	v_mul_f64_e32 v[230:231], s[16:17], v[86:87]
	v_add_f64_e32 v[0:1], v[232:233], v[0:1]
	v_mul_f64_e32 v[232:233], s[28:29], v[100:101]
	s_delay_alu instid0(VALU_DEP_4) | instskip(SKIP_1) | instid1(VALU_DEP_3)
	v_add_f64_e32 v[80:81], v[150:151], v[80:81]
	v_mul_f64_e32 v[100:101], s[42:43], v[100:101]
	v_fma_f64 v[150:151], v[142:143], s[26:27], v[232:233]
	v_fma_f64 v[234:235], v[142:143], s[26:27], -v[232:233]
	v_mul_f64_e32 v[232:233], s[16:17], v[140:141]
	v_mul_f64_e32 v[140:141], s[54:55], v[140:141]
	s_delay_alu instid0(VALU_DEP_4)
	v_add_f64_e32 v[150:151], v[150:151], v[82:83]
	v_fma_f64 v[82:83], v[102:103], s[22:23], -v[236:237]
	v_add_f64_e32 v[234:235], v[234:235], v[2:3]
	v_fma_f64 v[2:3], v[102:103], s[22:23], v[236:237]
	v_mul_f64_e32 v[236:237], s[42:43], v[96:97]
	v_mul_f64_e32 v[96:97], s[10:11], v[96:97]
	v_add_f64_e32 v[82:83], v[82:83], v[80:81]
	v_add_f64_e32 v[80:81], v[152:153], v[150:151]
	v_fma_f64 v[150:151], v[253:254], s[18:19], v[200:201]
	v_fma_f64 v[152:153], v[241:242], s[18:19], -v[202:203]
	v_add_f64_e32 v[2:3], v[2:3], v[0:1]
	v_fma_f64 v[0:1], v[92:93], s[22:23], -v[238:239]
	v_mul_f64_e32 v[238:239], s[50:51], v[94:95]
	v_add_f64_e32 v[150:151], v[150:151], v[184:185]
	v_add_f64_e32 v[152:153], v[152:153], v[210:211]
	v_mul_f64_e32 v[210:211], s[58:59], v[66:67]
	v_add_f64_e32 v[0:1], v[0:1], v[234:235]
	v_mul_f64_e32 v[234:235], s[42:43], v[90:91]
	scratch_load_b64 v[184:185], off, off offset:536 th:TH_LOAD_LU ; 8-byte Folded Reload
	v_add_f64_e32 v[150:151], v[180:181], v[150:151]
	v_fma_f64 v[180:181], v[245:246], s[22:23], -v[208:209]
	s_delay_alu instid0(VALU_DEP_1) | instskip(SKIP_1) | instid1(VALU_DEP_1)
	v_add_f64_e32 v[152:153], v[180:181], v[152:153]
	v_fma_f64 v[180:181], v[78:79], s[30:31], v[210:211]
	v_add_f64_e32 v[150:151], v[180:181], v[150:151]
	v_fma_f64 v[180:181], v[247:248], s[30:31], -v[214:215]
	s_delay_alu instid0(VALU_DEP_1) | instskip(SKIP_1) | instid1(VALU_DEP_1)
	v_add_f64_e32 v[152:153], v[180:181], v[152:153]
	v_fma_f64 v[180:181], v[88:89], s[2:3], v[230:231]
	;; [unrolled: 5-line block ×3, first 2 shown]
	v_add_f64_e32 v[150:151], v[180:181], v[150:151]
	v_fma_f64 v[180:181], v[84:85], s[40:41], -v[236:237]
	s_delay_alu instid0(VALU_DEP_1) | instskip(SKIP_1) | instid1(VALU_DEP_2)
	v_add_f64_e32 v[152:153], v[180:181], v[152:153]
	v_fma_f64 v[180:181], v[98:99], s[8:9], v[238:239]
	v_add_f64_e32 v[6:7], v[6:7], v[152:153]
	s_delay_alu instid0(VALU_DEP_2) | instskip(SKIP_4) | instid1(VALU_DEP_2)
	v_add_f64_e32 v[150:151], v[180:181], v[150:151]
	scratch_load_b64 v[180:181], off, off offset:616 th:TH_LOAD_LU ; 8-byte Folded Reload
	v_add_f64_e32 v[152:153], v[10:11], v[150:151]
	v_mul_f64_e32 v[10:11], s[28:29], v[148:149]
	v_mul_f64_e32 v[148:149], s[46:47], v[148:149]
	v_fma_f64 v[150:151], v[92:93], s[26:27], -v[10:11]
	v_fma_f64 v[10:11], v[92:93], s[26:27], v[10:11]
	s_delay_alu instid0(VALU_DEP_2) | instskip(SKIP_2) | instid1(VALU_DEP_1)
	v_add_f64_e32 v[150:151], v[150:151], v[6:7]
	v_mul_f64_e32 v[6:7], s[48:49], v[90:91]
	s_wait_loadcnt 0x0
	v_add_f64_e64 v[6:7], v[180:181], -v[6:7]
	v_mul_f64_e32 v[180:181], s[44:45], v[86:87]
	s_delay_alu instid0(VALU_DEP_1) | instskip(SKIP_1) | instid1(VALU_DEP_1)
	v_add_f64_e64 v[180:181], v[184:185], -v[180:181]
	v_mul_f64_e32 v[184:185], s[42:43], v[66:67]
	v_add_f64_e64 v[184:185], v[196:197], -v[184:185]
	v_mul_f64_e32 v[196:197], s[34:35], v[251:252]
	s_delay_alu instid0(VALU_DEP_1) | instskip(SKIP_1) | instid1(VALU_DEP_1)
	v_add_f64_e64 v[196:197], v[198:199], -v[196:197]
	v_mul_f64_e32 v[198:199], s[24:25], v[249:250]
	v_add_f64_e64 v[198:199], v[154:155], -v[198:199]
	v_mul_f64_e32 v[154:155], s[26:27], v[84:85]
	s_delay_alu instid0(VALU_DEP_2) | instskip(NEXT) | instid1(VALU_DEP_2)
	v_add_f64_e32 v[182:183], v[198:199], v[182:183]
	v_add_f64_e32 v[154:155], v[154:155], v[212:213]
	scratch_load_b64 v[212:213], off, off offset:456 th:TH_LOAD_LU ; 8-byte Folded Reload
	v_mul_f64_e32 v[198:199], s[40:41], v[247:248]
	v_add_f64_e32 v[182:183], v[196:197], v[182:183]
	v_mul_f64_e32 v[196:197], s[46:47], v[94:95]
	s_delay_alu instid0(VALU_DEP_3) | instskip(NEXT) | instid1(VALU_DEP_3)
	v_add_f64_e32 v[198:199], v[198:199], v[46:47]
	v_add_f64_e32 v[182:183], v[184:185], v[182:183]
	s_delay_alu instid0(VALU_DEP_1) | instskip(NEXT) | instid1(VALU_DEP_1)
	v_add_f64_e32 v[180:181], v[180:181], v[182:183]
	v_add_f64_e32 v[6:7], v[6:7], v[180:181]
	v_mul_f64_e32 v[180:181], s[2:3], v[92:93]
	s_wait_loadcnt 0x0
	v_add_f64_e32 v[228:229], v[228:229], v[212:213]
	v_mul_f64_e32 v[212:213], s[22:23], v[241:242]
	s_delay_alu instid0(VALU_DEP_1) | instskip(SKIP_1) | instid1(VALU_DEP_2)
	v_add_f64_e32 v[212:213], v[212:213], v[218:219]
	v_mul_f64_e32 v[218:219], s[30:31], v[245:246]
	v_add_f64_e32 v[194:195], v[212:213], v[194:195]
	s_delay_alu instid0(VALU_DEP_2) | instskip(SKIP_4) | instid1(VALU_DEP_2)
	v_add_f64_e32 v[218:219], v[218:219], v[40:41]
	scratch_load_b64 v[40:41], off, off offset:504 th:TH_LOAD_LU ; 8-byte Folded Reload
	v_mul_f64_e32 v[212:213], s[8:9], v[64:65]
	v_add_f64_e32 v[194:195], v[218:219], v[194:195]
	v_mul_f64_e32 v[218:219], s[30:31], v[241:242]
	v_add_f64_e32 v[184:185], v[198:199], v[194:195]
	v_mul_f64_e32 v[194:195], s[18:19], v[142:143]
	v_mul_f64_e32 v[198:199], s[2:3], v[84:85]
	s_delay_alu instid0(VALU_DEP_3) | instskip(SKIP_2) | instid1(VALU_DEP_3)
	v_add_f64_e32 v[182:183], v[228:229], v[184:185]
	v_mul_f64_e32 v[184:185], s[52:53], v[146:147]
	v_mul_f64_e32 v[228:229], s[40:41], v[245:246]
	v_add_f64_e32 v[154:155], v[154:155], v[182:183]
	s_wait_loadcnt 0x0
	v_add_f64_e64 v[196:197], v[40:41], -v[196:197]
	scratch_load_b64 v[40:41], off, off offset:464 th:TH_LOAD_LU ; 8-byte Folded Reload
	v_add_f64_e32 v[6:7], v[196:197], v[6:7]
	v_mul_f64_e32 v[196:197], s[34:35], v[249:250]
	s_wait_loadcnt 0x0
	v_add_f64_e32 v[194:195], v[194:195], v[40:41]
	scratch_load_b64 v[40:41], off, off offset:544 th:TH_LOAD_LU ; 8-byte Folded Reload
	v_add_f64_e32 v[154:155], v[194:195], v[154:155]
	v_mul_f64_e32 v[194:195], s[56:57], v[251:252]
	s_wait_loadcnt 0x0
	v_add_f64_e64 v[184:185], v[40:41], -v[184:185]
	scratch_load_b64 v[40:41], off, off offset:472 th:TH_LOAD_LU ; 8-byte Folded Reload
	v_add_f64_e32 v[182:183], v[184:185], v[6:7]
	v_mul_f64_e32 v[6:7], s[16:17], v[90:91]
	v_mul_f64_e32 v[184:185], s[48:49], v[66:67]
	s_wait_loadcnt 0x0
	v_add_f64_e32 v[180:181], v[180:181], v[40:41]
	scratch_load_b64 v[40:41], off, off offset:784 th:TH_LOAD_LU ; 8-byte Folded Reload
	v_add_f64_e32 v[180:181], v[180:181], v[154:155]
	v_mul_f64_e32 v[154:155], s[50:51], v[86:87]
	s_wait_loadcnt 0x0
	v_add_f64_e64 v[6:7], v[40:41], -v[6:7]
	scratch_load_b64 v[40:41], off, off offset:712 th:TH_LOAD_LU ; 8-byte Folded Reload
	s_wait_loadcnt 0x0
	v_add_f64_e64 v[154:155], v[40:41], -v[154:155]
	scratch_load_b64 v[40:41], off, off offset:624 th:TH_LOAD_LU ; 8-byte Folded Reload
	;; [unrolled: 3-line block ×5, first 2 shown]
	v_add_f64_e32 v[186:187], v[196:197], v[186:187]
	v_mul_f64_e32 v[196:197], s[26:27], v[247:248]
	s_delay_alu instid0(VALU_DEP_2) | instskip(SKIP_1) | instid1(VALU_DEP_2)
	v_add_f64_e32 v[186:187], v[194:195], v[186:187]
	v_mul_f64_e32 v[194:195], s[24:25], v[94:95]
	v_add_f64_e32 v[184:185], v[184:185], v[186:187]
	s_delay_alu instid0(VALU_DEP_1) | instskip(NEXT) | instid1(VALU_DEP_1)
	v_add_f64_e32 v[154:155], v[154:155], v[184:185]
	v_add_f64_e32 v[6:7], v[6:7], v[154:155]
	s_wait_loadcnt 0x0
	v_add_f64_e32 v[198:199], v[198:199], v[40:41]
	scratch_load_b64 v[40:41], off, off offset:608 th:TH_LOAD_LU ; 8-byte Folded Reload
	s_wait_loadcnt 0x0
	v_add_f64_e32 v[212:213], v[212:213], v[40:41]
	scratch_load_b64 v[40:41], off, off offset:440 th:TH_LOAD_LU ; 8-byte Folded Reload
	;; [unrolled: 3-line block ×3, first 2 shown]
	v_add_f64_e32 v[192:193], v[218:219], v[192:193]
	v_mul_f64_e32 v[218:219], s[40:41], v[241:242]
	s_wait_loadcnt 0x0
	v_add_f64_e32 v[228:229], v[228:229], v[40:41]
	scratch_load_b64 v[40:41], off, off offset:496 th:TH_LOAD_LU ; 8-byte Folded Reload
	v_add_f64_e32 v[192:193], v[228:229], v[192:193]
	v_mul_f64_e32 v[228:229], s[26:27], v[245:246]
	s_wait_loadcnt 0x0
	v_add_f64_e32 v[196:197], v[196:197], v[40:41]
	scratch_load_b64 v[40:41], off, off offset:632 th:TH_LOAD_LU ; 8-byte Folded Reload
	v_add_f64_e32 v[186:187], v[196:197], v[192:193]
	v_mul_f64_e32 v[192:193], s[22:23], v[142:143]
	v_mul_f64_e32 v[196:197], s[42:43], v[249:250]
	s_delay_alu instid0(VALU_DEP_3) | instskip(SKIP_2) | instid1(VALU_DEP_3)
	v_add_f64_e32 v[184:185], v[212:213], v[186:187]
	v_mul_f64_e32 v[186:187], s[38:39], v[146:147]
	v_mul_f64_e32 v[212:213], s[18:19], v[64:65]
	v_add_f64_e32 v[154:155], v[198:199], v[184:185]
	v_mul_f64_e32 v[184:185], s[36:37], v[92:93]
	v_mul_f64_e32 v[198:199], s[36:37], v[84:85]
	s_wait_loadcnt 0x0
	v_add_f64_e64 v[194:195], v[40:41], -v[194:195]
	scratch_load_b64 v[40:41], off, off offset:576 th:TH_LOAD_LU ; 8-byte Folded Reload
	v_add_f64_e32 v[6:7], v[194:195], v[6:7]
	v_mul_f64_e32 v[194:195], s[48:49], v[251:252]
	s_wait_loadcnt 0x0
	v_add_f64_e32 v[192:193], v[192:193], v[40:41]
	scratch_load_b64 v[40:41], off, off offset:640 th:TH_LOAD_LU ; 8-byte Folded Reload
	v_add_f64_e32 v[154:155], v[192:193], v[154:155]
	v_mul_f64_e32 v[192:193], s[52:53], v[66:67]
	s_wait_loadcnt 0x0
	v_add_f64_e64 v[186:187], v[40:41], -v[186:187]
	scratch_load_b64 v[40:41], off, off offset:552 th:TH_LOAD_LU ; 8-byte Folded Reload
	v_add_f64_e32 v[186:187], v[186:187], v[6:7]
	v_mul_f64_e32 v[6:7], s[38:39], v[90:91]
	s_wait_loadcnt 0x0
	v_add_f64_e32 v[184:185], v[184:185], v[40:41]
	scratch_load_b64 v[40:41], off, off offset:832 th:TH_LOAD_LU ; 8-byte Folded Reload
	v_add_f64_e32 v[184:185], v[184:185], v[154:155]
	v_mul_f64_e32 v[154:155], s[20:21], v[86:87]
	s_wait_loadcnt 0x0
	v_add_f64_e64 v[6:7], v[40:41], -v[6:7]
	scratch_load_b64 v[40:41], off, off offset:792 th:TH_LOAD_LU ; 8-byte Folded Reload
	s_wait_loadcnt 0x0
	v_add_f64_e64 v[154:155], v[40:41], -v[154:155]
	scratch_load_b64 v[40:41], off, off offset:728 th:TH_LOAD_LU ; 8-byte Folded Reload
	;; [unrolled: 3-line block ×5, first 2 shown]
	v_add_f64_e32 v[188:189], v[196:197], v[188:189]
	v_mul_f64_e32 v[196:197], s[2:3], v[247:248]
	s_delay_alu instid0(VALU_DEP_2) | instskip(SKIP_1) | instid1(VALU_DEP_2)
	v_add_f64_e32 v[188:189], v[194:195], v[188:189]
	v_mul_f64_e32 v[194:195], s[58:59], v[94:95]
	v_add_f64_e32 v[188:189], v[192:193], v[188:189]
	v_mul_f64_e32 v[192:193], s[30:31], v[142:143]
	s_delay_alu instid0(VALU_DEP_2) | instskip(NEXT) | instid1(VALU_DEP_1)
	v_add_f64_e32 v[154:155], v[154:155], v[188:189]
	v_add_f64_e32 v[6:7], v[6:7], v[154:155]
	s_wait_loadcnt 0x0
	v_add_f64_e32 v[198:199], v[198:199], v[40:41]
	scratch_load_b64 v[40:41], off, off offset:704 th:TH_LOAD_LU ; 8-byte Folded Reload
	s_wait_loadcnt 0x0
	v_add_f64_e32 v[212:213], v[212:213], v[40:41]
	scratch_load_b64 v[40:41], off, off offset:520 th:TH_LOAD_LU ; 8-byte Folded Reload
	;; [unrolled: 3-line block ×3, first 2 shown]
	v_add_f64_e32 v[190:191], v[218:219], v[190:191]
	v_mul_f64_e32 v[218:219], s[36:37], v[241:242]
	s_wait_loadcnt 0x0
	v_add_f64_e32 v[228:229], v[228:229], v[40:41]
	scratch_load_b64 v[40:41], off, off offset:592 th:TH_LOAD_LU ; 8-byte Folded Reload
	v_add_f64_e32 v[190:191], v[228:229], v[190:191]
	v_mul_f64_e32 v[228:229], s[8:9], v[245:246]
	s_wait_loadcnt 0x0
	v_add_f64_e32 v[196:197], v[196:197], v[40:41]
	scratch_load_b64 v[40:41], off, off offset:736 th:TH_LOAD_LU ; 8-byte Folded Reload
	v_add_f64_e32 v[190:191], v[196:197], v[190:191]
	v_mul_f64_e32 v[196:197], s[44:45], v[249:250]
	s_delay_alu instid0(VALU_DEP_2) | instskip(SKIP_2) | instid1(VALU_DEP_3)
	v_add_f64_e32 v[188:189], v[212:213], v[190:191]
	v_mul_f64_e32 v[190:191], s[50:51], v[146:147]
	v_mul_f64_e32 v[212:213], s[40:41], v[64:65]
	v_add_f64_e32 v[154:155], v[198:199], v[188:189]
	v_mul_f64_e32 v[188:189], s[8:9], v[92:93]
	v_mul_f64_e32 v[198:199], s[22:23], v[84:85]
	s_wait_loadcnt 0x0
	v_add_f64_e64 v[194:195], v[40:41], -v[194:195]
	scratch_load_b64 v[40:41], off, off offset:696 th:TH_LOAD_LU ; 8-byte Folded Reload
	v_add_f64_e32 v[6:7], v[194:195], v[6:7]
	v_mul_f64_e32 v[194:195], s[50:51], v[251:252]
	s_wait_loadcnt 0x0
	v_add_f64_e32 v[192:193], v[192:193], v[40:41]
	scratch_load_b64 v[40:41], off, off offset:720 th:TH_LOAD_LU ; 8-byte Folded Reload
	v_add_f64_e32 v[154:155], v[192:193], v[154:155]
	v_mul_f64_e32 v[192:193], s[20:21], v[66:67]
	s_wait_loadcnt 0x0
	v_add_f64_e64 v[190:191], v[40:41], -v[190:191]
	scratch_load_b64 v[40:41], off, off offset:664 th:TH_LOAD_LU ; 8-byte Folded Reload
	v_add_f64_e32 v[190:191], v[190:191], v[6:7]
	v_mul_f64_e32 v[6:7], s[54:55], v[90:91]
	s_wait_loadcnt 0x0
	v_add_f64_e32 v[188:189], v[188:189], v[40:41]
	scratch_load_b64 v[40:41], off, off offset:848 th:TH_LOAD_LU ; 8-byte Folded Reload
	v_add_f64_e32 v[188:189], v[188:189], v[154:155]
	v_mul_f64_e32 v[154:155], s[42:43], v[86:87]
	s_wait_loadcnt 0x0
	v_add_f64_e64 v[6:7], v[40:41], -v[6:7]
	scratch_load_b64 v[40:41], off, off offset:840 th:TH_LOAD_LU ; 8-byte Folded Reload
	s_wait_loadcnt 0x0
	v_add_f64_e64 v[154:155], v[40:41], -v[154:155]
	scratch_load_b64 v[40:41], off, off offset:808 th:TH_LOAD_LU ; 8-byte Folded Reload
	;; [unrolled: 3-line block ×5, first 2 shown]
	v_add_f64_e32 v[196:197], v[196:197], v[224:225]
	v_mul_f64_e32 v[224:225], s[18:19], v[247:248]
	s_delay_alu instid0(VALU_DEP_2) | instskip(NEXT) | instid1(VALU_DEP_1)
	v_add_f64_e32 v[194:195], v[194:195], v[196:197]
	v_add_f64_e32 v[192:193], v[192:193], v[194:195]
	s_delay_alu instid0(VALU_DEP_1) | instskip(NEXT) | instid1(VALU_DEP_1)
	v_add_f64_e32 v[154:155], v[154:155], v[192:193]
	v_add_f64_e32 v[6:7], v[6:7], v[154:155]
	s_wait_loadcnt 0x0
	v_add_f64_e32 v[198:199], v[198:199], v[40:41]
	scratch_load_b64 v[40:41], off, off offset:776 th:TH_LOAD_LU ; 8-byte Folded Reload
	s_wait_loadcnt 0x0
	v_add_f64_e32 v[212:213], v[212:213], v[40:41]
	scratch_load_b64 v[40:41], off, off offset:584 th:TH_LOAD_LU ; 8-byte Folded Reload
	;; [unrolled: 3-line block ×3, first 2 shown]
	v_add_f64_e32 v[218:219], v[218:219], v[226:227]
	v_mul_f64_e32 v[226:227], s[42:43], v[94:95]
	s_wait_loadcnt 0x0
	v_add_f64_e32 v[228:229], v[228:229], v[40:41]
	scratch_load_b64 v[40:41], off, off offset:656 th:TH_LOAD_LU ; 8-byte Folded Reload
	v_add_f64_e32 v[196:197], v[228:229], v[218:219]
	v_mul_f64_e32 v[218:219], s[16:17], v[94:95]
	v_mul_f64_e32 v[228:229], s[46:47], v[146:147]
	s_wait_loadcnt 0x0
	v_add_f64_e32 v[224:225], v[224:225], v[40:41]
	scratch_load_b64 v[40:41], off, off offset:816 th:TH_LOAD_LU ; 8-byte Folded Reload
	v_add_f64_e32 v[194:195], v[224:225], v[196:197]
	v_mul_f64_e32 v[196:197], s[2:3], v[142:143]
	v_mul_f64_e32 v[224:225], s[10:11], v[90:91]
	s_delay_alu instid0(VALU_DEP_3) | instskip(SKIP_2) | instid1(VALU_DEP_3)
	v_add_f64_e32 v[192:193], v[212:213], v[194:195]
	v_mul_f64_e32 v[194:195], s[34:35], v[146:147]
	v_mul_f64_e32 v[212:213], s[48:49], v[243:244]
	v_add_f64_e32 v[154:155], v[198:199], v[192:193]
	v_mul_f64_e32 v[192:193], s[30:31], v[92:93]
	s_wait_loadcnt 0x0
	v_add_f64_e64 v[218:219], v[40:41], -v[218:219]
	scratch_load_b64 v[40:41], off, off offset:760 th:TH_LOAD_LU ; 8-byte Folded Reload
	v_add_f64_e32 v[6:7], v[218:219], v[6:7]
	v_mul_f64_e32 v[218:219], s[16:17], v[251:252]
	s_delay_alu instid0(VALU_DEP_1)
	v_fma_f64 v[198:199], v[36:37], s[2:3], -v[218:219]
	s_wait_loadcnt 0x0
	v_add_f64_e32 v[196:197], v[196:197], v[40:41]
	scratch_load_b64 v[40:41], off, off offset:800 th:TH_LOAD_LU ; 8-byte Folded Reload
	v_add_f64_e32 v[154:155], v[196:197], v[154:155]
	v_fma_f64 v[196:197], v[241:242], s[26:27], v[212:213]
	s_delay_alu instid0(VALU_DEP_1)
	v_add_f64_e32 v[196:197], v[196:197], v[222:223]
	v_mul_f64_e32 v[222:223], s[54:55], v[86:87]
	s_wait_loadcnt 0x0
	v_add_f64_e64 v[194:195], v[40:41], -v[194:195]
	scratch_load_b64 v[40:41], off, off offset:744 th:TH_LOAD_LU ; 8-byte Folded Reload
	v_add_f64_e32 v[194:195], v[194:195], v[6:7]
	v_mul_f64_e32 v[6:7], s[48:49], v[249:250]
	s_wait_loadcnt 0x0
	v_add_f64_e32 v[192:193], v[192:193], v[40:41]
	scratch_load_b64 v[40:41], off, off offset:880 th:TH_LOAD_LU ; 8-byte Folded Reload
	v_add_f64_e32 v[192:193], v[192:193], v[154:155]
	v_fma_f64 v[154:155], v[253:254], s[26:27], -v[6:7]
	s_delay_alu instid0(VALU_DEP_1) | instskip(SKIP_1) | instid1(VALU_DEP_2)
	v_add_f64_e32 v[154:155], v[154:155], v[220:221]
	v_mul_f64_e32 v[220:221], s[38:39], v[66:67]
	v_add_f64_e32 v[154:155], v[198:199], v[154:155]
	v_fma_f64 v[198:199], v[245:246], s[2:3], v[38:39]
	s_delay_alu instid0(VALU_DEP_1) | instskip(NEXT) | instid1(VALU_DEP_4)
	v_add_f64_e32 v[196:197], v[198:199], v[196:197]
	v_fma_f64 v[198:199], v[78:79], s[36:37], -v[220:221]
	s_delay_alu instid0(VALU_DEP_1) | instskip(SKIP_1) | instid1(VALU_DEP_1)
	v_add_f64_e32 v[154:155], v[198:199], v[154:155]
	v_fma_f64 v[198:199], v[247:248], s[36:37], v[76:77]
	v_add_f64_e32 v[196:197], v[198:199], v[196:197]
	v_fma_f64 v[198:199], v[88:89], s[22:23], -v[222:223]
	s_delay_alu instid0(VALU_DEP_1) | instskip(SKIP_1) | instid1(VALU_DEP_1)
	v_add_f64_e32 v[154:155], v[198:199], v[154:155]
	v_fma_f64 v[198:199], v[64:65], s[22:23], v[140:141]
	;; [unrolled: 5-line block ×5, first 2 shown]
	v_add_f64_e32 v[196:197], v[154:155], v[196:197]
	v_fma_f64 v[154:155], v[253:254], s[18:19], -v[200:201]
	v_fma_f64 v[200:201], v[241:242], s[18:19], v[202:203]
	v_fma_f64 v[202:203], v[36:37], s[22:23], -v[204:205]
	v_fma_f64 v[36:37], v[36:37], s[2:3], v[218:219]
	s_delay_alu instid0(VALU_DEP_4) | instskip(NEXT) | instid1(VALU_DEP_4)
	v_add_f64_e32 v[154:155], v[154:155], v[216:217]
	v_add_f64_e32 v[200:201], v[200:201], v[206:207]
	s_delay_alu instid0(VALU_DEP_2) | instskip(SKIP_1) | instid1(VALU_DEP_1)
	v_add_f64_e32 v[154:155], v[202:203], v[154:155]
	v_fma_f64 v[202:203], v[245:246], s[22:23], v[208:209]
	v_add_f64_e32 v[200:201], v[202:203], v[200:201]
	v_fma_f64 v[202:203], v[78:79], s[30:31], -v[210:211]
	v_fma_f64 v[78:79], v[78:79], s[36:37], v[220:221]
	s_delay_alu instid0(VALU_DEP_2) | instskip(SKIP_1) | instid1(VALU_DEP_1)
	v_add_f64_e32 v[154:155], v[202:203], v[154:155]
	v_fma_f64 v[202:203], v[247:248], s[30:31], v[214:215]
	v_add_f64_e32 v[200:201], v[202:203], v[200:201]
	v_fma_f64 v[202:203], v[88:89], s[2:3], -v[230:231]
	s_delay_alu instid0(VALU_DEP_1) | instskip(SKIP_1) | instid1(VALU_DEP_1)
	v_add_f64_e32 v[154:155], v[202:203], v[154:155]
	v_fma_f64 v[202:203], v[64:65], s[2:3], v[232:233]
	v_add_f64_e32 v[200:201], v[202:203], v[200:201]
	v_fma_f64 v[202:203], v[144:145], s[40:41], -v[234:235]
	s_delay_alu instid0(VALU_DEP_1) | instskip(SKIP_1) | instid1(VALU_DEP_1)
	v_add_f64_e32 v[154:155], v[202:203], v[154:155]
	v_fma_f64 v[202:203], v[84:85], s[40:41], v[236:237]
	v_add_f64_e32 v[200:201], v[202:203], v[200:201]
	v_fma_f64 v[202:203], v[98:99], s[8:9], -v[238:239]
	s_delay_alu instid0(VALU_DEP_2) | instskip(NEXT) | instid1(VALU_DEP_2)
	v_add_f64_e32 v[4:5], v[4:5], v[200:201]
	v_add_f64_e32 v[154:155], v[202:203], v[154:155]
	s_delay_alu instid0(VALU_DEP_2)
	v_add_f64_e32 v[200:201], v[10:11], v[4:5]
	v_fma_f64 v[4:5], v[253:254], s[26:27], v[6:7]
	v_fma_f64 v[6:7], v[98:99], s[40:41], v[226:227]
	v_fma_f64 v[98:99], v[241:242], s[26:27], -v[212:213]
	v_fma_f64 v[10:11], v[88:89], s[22:23], v[222:223]
	v_add_f64_e32 v[202:203], v[8:9], v[154:155]
	v_fma_f64 v[8:9], v[144:145], s[8:9], v[224:225]
	v_fma_f64 v[88:89], v[102:103], s[18:19], v[228:229]
	s_wait_loadcnt 0x0
	v_add_f64_e32 v[4:5], v[4:5], v[40:41]
	scratch_load_b64 v[40:41], off, off offset:872 th:TH_LOAD_LU ; 8-byte Folded Reload
	v_add_f64_e32 v[4:5], v[36:37], v[4:5]
	v_fma_f64 v[36:37], v[245:246], s[2:3], -v[38:39]
	v_fma_f64 v[38:39], v[247:248], s[36:37], -v[76:77]
	v_mul_f64_e32 v[76:77], s[30:31], v[84:85]
	s_delay_alu instid0(VALU_DEP_4) | instskip(SKIP_1) | instid1(VALU_DEP_3)
	v_add_f64_e32 v[4:5], v[78:79], v[4:5]
	v_mul_f64_e32 v[78:79], s[8:9], v[241:242]
	v_add_f64_e32 v[76:77], v[76:77], v[28:29]
	s_delay_alu instid0(VALU_DEP_3) | instskip(NEXT) | instid1(VALU_DEP_3)
	v_add_f64_e32 v[4:5], v[10:11], v[4:5]
	v_add_f64_e32 v[78:79], v[78:79], v[12:13]
	scratch_load_b64 v[12:13], off, off offset:856 th:TH_LOAD_LU ; 8-byte Folded Reload
	v_fma_f64 v[10:11], v[64:65], s[22:23], -v[140:141]
	v_mul_f64_e32 v[64:65], s[26:27], v[64:65]
	v_add_f64_e32 v[4:5], v[8:9], v[4:5]
	v_fma_f64 v[8:9], v[84:85], s[8:9], -v[96:97]
	v_mul_f64_e32 v[84:85], s[18:19], v[245:246]
	s_delay_alu instid0(VALU_DEP_4) | instskip(NEXT) | instid1(VALU_DEP_4)
	v_add_f64_e32 v[64:65], v[64:65], v[16:17]
	v_add_f64_e32 v[4:5], v[6:7], v[4:5]
	v_fma_f64 v[6:7], v[142:143], s[40:41], -v[100:101]
	s_delay_alu instid0(VALU_DEP_4) | instskip(SKIP_2) | instid1(VALU_DEP_1)
	v_add_f64_e32 v[84:85], v[84:85], v[30:31]
	s_wait_loadcnt 0x1
	v_add_f64_e32 v[98:99], v[98:99], v[40:41]
	v_add_f64_e32 v[36:37], v[36:37], v[98:99]
	s_delay_alu instid0(VALU_DEP_1) | instskip(SKIP_2) | instid1(VALU_DEP_3)
	v_add_f64_e32 v[36:37], v[38:39], v[36:37]
	v_add_f64_e32 v[38:39], v[88:89], v[4:5]
	v_mul_f64_e32 v[4:5], s[34:35], v[90:91]
	v_add_f64_e32 v[10:11], v[10:11], v[36:37]
	s_delay_alu instid0(VALU_DEP_2) | instskip(NEXT) | instid1(VALU_DEP_2)
	v_add_f64_e64 v[4:5], v[24:25], -v[4:5]
	v_add_f64_e32 v[8:9], v[8:9], v[10:11]
	v_mul_f64_e32 v[10:11], s[20:21], v[251:252]
	s_delay_alu instid0(VALU_DEP_2) | instskip(SKIP_1) | instid1(VALU_DEP_3)
	v_add_f64_e32 v[6:7], v[6:7], v[8:9]
	v_fma_f64 v[8:9], v[92:93], s[18:19], -v[148:149]
	v_add_f64_e64 v[10:11], v[18:19], -v[10:11]
	s_delay_alu instid0(VALU_DEP_2) | instskip(SKIP_4) | instid1(VALU_DEP_4)
	v_add_f64_e32 v[36:37], v[8:9], v[6:7]
	v_mul_f64_e32 v[8:9], s[24:25], v[66:67]
	v_mul_f64_e32 v[66:67], s[10:11], v[249:250]
	;; [unrolled: 1-line block ×4, first 2 shown]
	v_add_f64_e64 v[8:9], v[14:15], -v[8:9]
	s_delay_alu instid0(VALU_DEP_4) | instskip(NEXT) | instid1(VALU_DEP_4)
	v_add_f64_e64 v[66:67], v[22:23], -v[66:67]
	v_add_f64_e64 v[6:7], v[20:21], -v[6:7]
	s_delay_alu instid0(VALU_DEP_4) | instskip(SKIP_1) | instid1(VALU_DEP_3)
	v_add_f64_e32 v[86:87], v[86:87], v[26:27]
	s_wait_loadcnt 0x0
	v_add_f64_e32 v[66:67], v[66:67], v[12:13]
	scratch_load_b64 v[12:13], off, off offset:864 th:TH_LOAD_LU ; 8-byte Folded Reload
	v_add_f64_e32 v[10:11], v[10:11], v[66:67]
	s_delay_alu instid0(VALU_DEP_1) | instskip(NEXT) | instid1(VALU_DEP_1)
	v_add_f64_e32 v[8:9], v[8:9], v[10:11]
	v_add_f64_e32 v[6:7], v[6:7], v[8:9]
	s_delay_alu instid0(VALU_DEP_1) | instskip(SKIP_2) | instid1(VALU_DEP_1)
	v_add_f64_e32 v[4:5], v[4:5], v[6:7]
	s_wait_loadcnt 0x0
	v_add_f64_e32 v[78:79], v[78:79], v[12:13]
	v_add_f64_e32 v[66:67], v[84:85], v[78:79]
	v_mul_f64_e32 v[78:79], s[38:39], v[94:95]
	s_delay_alu instid0(VALU_DEP_2) | instskip(NEXT) | instid1(VALU_DEP_2)
	v_add_f64_e32 v[10:11], v[86:87], v[66:67]
	v_add_f64_e64 v[78:79], v[34:35], -v[78:79]
	v_mul_f64_e32 v[66:67], s[36:37], v[142:143]
	s_delay_alu instid0(VALU_DEP_3) | instskip(SKIP_1) | instid1(VALU_DEP_3)
	v_add_f64_e32 v[8:9], v[64:65], v[10:11]
	v_mul_f64_e32 v[10:11], s[42:43], v[146:147]
	v_add_f64_e32 v[66:67], v[66:67], v[32:33]
	v_add_f64_e32 v[4:5], v[78:79], v[4:5]
	s_delay_alu instid0(VALU_DEP_4) | instskip(NEXT) | instid1(VALU_DEP_4)
	v_add_f64_e32 v[6:7], v[76:77], v[8:9]
	v_add_f64_e64 v[10:11], v[42:43], -v[10:11]
	v_mul_f64_e32 v[8:9], s[40:41], v[92:93]
	s_delay_alu instid0(VALU_DEP_3) | instskip(NEXT) | instid1(VALU_DEP_3)
	v_add_f64_e32 v[6:7], v[66:67], v[6:7]
	v_add_f64_e32 v[66:67], v[10:11], v[4:5]
	scratch_load_b32 v4, off, off           ; 4-byte Folded Reload
	v_add_f64_e32 v[8:9], v[8:9], v[44:45]
	s_delay_alu instid0(VALU_DEP_1) | instskip(SKIP_2) | instid1(VALU_DEP_1)
	v_add_f64_e32 v[64:65], v[8:9], v[6:7]
	s_wait_loadcnt 0x0
	v_mul_lo_u16 v4, v4, 17
	v_and_b32_e32 v4, 0xffff, v4
	s_delay_alu instid0(VALU_DEP_1)
	v_lshlrev_b32_e32 v4, 4, v4
	ds_store_b128 v4, v[180:183] offset:32
	ds_store_b128 v4, v[172:175] offset:192
	;; [unrolled: 1-line block ×15, first 2 shown]
	ds_store_b128 v4, v[168:171]
	ds_store_b128 v4, v[156:159] offset:256
.LBB0_17:
	s_wait_alu 0xfffe
	s_or_b32 exec_lo, exec_lo, s1
	global_wb scope:SCOPE_SE
	s_wait_storecnt_dscnt 0x0
	s_barrier_signal -1
	s_barrier_wait -1
	global_inv scope:SCOPE_SE
	ds_load_b128 v[0:3], v240 offset:8160
	ds_load_b128 v[36:39], v240 offset:16320
	;; [unrolled: 1-line block ×10, first 2 shown]
	s_clause 0x8
	scratch_load_b128 v[20:23], off, off offset:196 th:TH_LOAD_LU
	scratch_load_b128 v[16:19], off, off offset:180 th:TH_LOAD_LU
	;; [unrolled: 1-line block ×9, first 2 shown]
	s_mov_b32 s2, 0xe8584caa
	s_mov_b32 s3, 0xbfebb67a
	;; [unrolled: 1-line block ×3, first 2 shown]
	s_wait_alu 0xfffe
	s_mov_b32 s8, s2
	s_wait_loadcnt_dscnt 0x809
	v_mul_f64_e32 v[4:5], v[22:23], v[2:3]
	v_mul_f64_e32 v[6:7], v[22:23], v[0:1]
	s_wait_loadcnt_dscnt 0x708
	v_mul_f64_e32 v[8:9], v[18:19], v[38:39]
	v_mul_f64_e32 v[10:11], v[18:19], v[36:37]
	;; [unrolled: 3-line block ×5, first 2 shown]
	s_wait_loadcnt_dscnt 0x201
	v_mul_f64_e32 v[154:155], v[26:27], v[98:99]
	s_wait_loadcnt 0x1
	v_mul_f64_e32 v[140:141], v[186:187], v[78:79]
	v_mul_f64_e32 v[144:145], v[14:15], v[82:83]
	;; [unrolled: 1-line block ×4, first 2 shown]
	s_wait_loadcnt 0x0
	v_mul_f64_e32 v[146:147], v[182:183], v[86:87]
	v_mul_f64_e32 v[148:149], v[182:183], v[84:85]
	;; [unrolled: 1-line block ×3, first 2 shown]
	v_fma_f64 v[168:169], v[20:21], v[0:1], v[4:5]
	v_fma_f64 v[20:21], v[20:21], v[2:3], -v[6:7]
	v_fma_f64 v[8:9], v[16:17], v[36:37], v[8:9]
	v_fma_f64 v[10:11], v[16:17], v[38:39], -v[10:11]
	v_fma_f64 v[16:17], v[188:189], v[64:65], v[18:19]
	v_fma_f64 v[18:19], v[188:189], v[66:67], -v[22:23]
	v_fma_f64 v[66:67], v[32:33], v[88:89], v[150:151]
	v_fma_f64 v[32:33], v[32:33], v[90:91], -v[34:35]
	v_fma_f64 v[34:35], v[28:29], v[92:93], v[152:153]
	v_fma_f64 v[28:29], v[28:29], v[94:95], -v[30:31]
	v_fma_f64 v[30:31], v[24:25], v[96:97], v[154:155]
	ds_load_b128 v[0:3], v240
	ds_load_b128 v[4:7], v240 offset:2720
	v_fma_f64 v[22:23], v[184:185], v[76:77], v[140:141]
	v_fma_f64 v[38:39], v[12:13], v[80:81], v[144:145]
	global_wb scope:SCOPE_SE
	s_wait_dscnt 0x0
	s_barrier_signal -1
	s_barrier_wait -1
	global_inv scope:SCOPE_SE
	v_fma_f64 v[36:37], v[184:185], v[78:79], -v[142:143]
	v_fma_f64 v[12:13], v[12:13], v[82:83], -v[14:15]
	v_fma_f64 v[14:15], v[180:181], v[84:85], v[146:147]
	v_fma_f64 v[64:65], v[180:181], v[86:87], -v[148:149]
	v_fma_f64 v[24:25], v[24:25], v[98:99], -v[26:27]
	v_add_f64_e64 v[26:27], v[0:1], -v[8:9]
	v_add_f64_e64 v[76:77], v[2:3], -v[10:11]
	;; [unrolled: 1-line block ×12, first 2 shown]
	v_fma_f64 v[30:31], v[0:1], 2.0, -v[26:27]
	v_fma_f64 v[34:35], v[2:3], 2.0, -v[76:77]
	;; [unrolled: 1-line block ×4, first 2 shown]
	v_add_f64_e32 v[0:1], v[26:27], v[10:11]
	v_add_f64_e64 v[2:3], v[76:77], -v[8:9]
	v_fma_f64 v[88:89], v[102:103], 2.0, -v[80:81]
	v_fma_f64 v[28:29], v[66:67], 2.0, -v[18:19]
	v_add_f64_e64 v[18:19], v[80:81], -v[18:19]
	v_fma_f64 v[82:83], v[4:5], 2.0, -v[38:39]
	v_fma_f64 v[84:85], v[6:7], 2.0, -v[78:79]
	;; [unrolled: 1-line block ×4, first 2 shown]
	v_add_f64_e32 v[4:5], v[38:39], v[12:13]
	v_fma_f64 v[32:33], v[32:33], 2.0, -v[24:25]
	v_fma_f64 v[86:87], v[100:101], 2.0, -v[64:65]
	v_add_f64_e64 v[8:9], v[30:31], -v[14:15]
	v_add_f64_e64 v[10:11], v[34:35], -v[20:21]
	v_fma_f64 v[66:67], v[80:81], 2.0, -v[18:19]
	scratch_load_b32 v80, off, off offset:156 th:TH_LOAD_LU ; 4-byte Folded Reload
	v_add_f64_e64 v[12:13], v[82:83], -v[6:7]
	v_add_f64_e64 v[14:15], v[84:85], -v[22:23]
	;; [unrolled: 1-line block ×4, first 2 shown]
	v_add_f64_e32 v[16:17], v[64:65], v[24:25]
	v_fma_f64 v[24:25], v[26:27], 2.0, -v[0:1]
	v_fma_f64 v[26:27], v[76:77], 2.0, -v[2:3]
	v_add_f64_e64 v[20:21], v[86:87], -v[28:29]
	v_fma_f64 v[28:29], v[38:39], 2.0, -v[4:5]
	v_fma_f64 v[32:33], v[30:31], 2.0, -v[8:9]
	;; [unrolled: 1-line block ×3, first 2 shown]
	s_wait_loadcnt 0x0
	ds_store_b128 v80, v[8:11] offset:544
	ds_store_b128 v80, v[0:3] offset:816
	ds_store_b128 v80, v[32:35]
	ds_store_b128 v80, v[24:27] offset:272
	scratch_load_b32 v0, off, off offset:148 th:TH_LOAD_LU ; 4-byte Folded Reload
	v_fma_f64 v[36:37], v[82:83], 2.0, -v[12:13]
	v_fma_f64 v[38:39], v[84:85], 2.0, -v[14:15]
	;; [unrolled: 1-line block ×6, first 2 shown]
	s_wait_loadcnt 0x0
	ds_store_b128 v0, v[36:39]
	ds_store_b128 v0, v[28:31] offset:272
	ds_store_b128 v0, v[12:15] offset:544
	;; [unrolled: 1-line block ×3, first 2 shown]
	scratch_load_b32 v0, off, off offset:140 th:TH_LOAD_LU ; 4-byte Folded Reload
	s_wait_loadcnt 0x0
	ds_store_b128 v0, v[76:79]
	ds_store_b128 v0, v[64:67] offset:272
	ds_store_b128 v0, v[20:23] offset:544
	ds_store_b128 v0, v[16:19] offset:816
	global_wb scope:SCOPE_SE
	s_wait_dscnt 0x0
	s_barrier_signal -1
	s_barrier_wait -1
	global_inv scope:SCOPE_SE
	ds_load_b128 v[0:3], v240 offset:10880
	ds_load_b128 v[4:7], v240 offset:21760
	;; [unrolled: 1-line block ×8, first 2 shown]
	s_clause 0x1
	scratch_load_b128 v[40:43], off, off offset:260 th:TH_LOAD_LU
	scratch_load_b128 v[44:47], off, off offset:276 th:TH_LOAD_LU
	s_wait_dscnt 0x7
	v_mul_f64_e32 v[32:33], v[58:59], v[2:3]
	v_mul_f64_e32 v[34:35], v[58:59], v[0:1]
	s_wait_dscnt 0x5
	v_mul_f64_e32 v[58:59], v[62:63], v[8:9]
	s_wait_dscnt 0x3
	;; [unrolled: 2-line block ×3, first 2 shown]
	v_mul_f64_e32 v[66:67], v[50:51], v[22:23]
	v_mul_f64_e32 v[54:55], v[54:55], v[16:17]
	;; [unrolled: 1-line block ×3, first 2 shown]
	s_wait_dscnt 0x1
	v_mul_f64_e32 v[76:77], v[74:75], v[26:27]
	v_mul_f64_e32 v[74:75], v[74:75], v[24:25]
	s_wait_dscnt 0x0
	v_mul_f64_e32 v[78:79], v[70:71], v[30:31]
	v_mul_f64_e32 v[70:71], v[70:71], v[28:29]
	v_fma_f64 v[32:33], v[56:57], v[0:1], v[32:33]
	v_fma_f64 v[34:35], v[56:57], v[2:3], -v[34:35]
	ds_load_b128 v[0:3], v240
	v_fma_f64 v[16:17], v[52:53], v[16:17], v[64:65]
	v_fma_f64 v[20:21], v[48:49], v[20:21], v[66:67]
	v_fma_f64 v[18:19], v[52:53], v[18:19], -v[54:55]
	v_fma_f64 v[22:23], v[48:49], v[22:23], -v[50:51]
	v_fma_f64 v[24:25], v[72:73], v[24:25], v[76:77]
	v_fma_f64 v[26:27], v[72:73], v[26:27], -v[74:75]
	v_fma_f64 v[28:29], v[68:69], v[28:29], v[78:79]
	v_fma_f64 v[30:31], v[68:69], v[30:31], -v[70:71]
	v_add_f64_e32 v[54:55], v[16:17], v[20:21]
	s_wait_loadcnt 0x1
	v_mul_f64_e32 v[36:37], v[42:43], v[6:7]
	v_mul_f64_e32 v[38:39], v[42:43], v[4:5]
	;; [unrolled: 1-line block ×3, first 2 shown]
	s_wait_loadcnt 0x0
	v_mul_f64_e32 v[62:63], v[46:47], v[14:15]
	v_mul_f64_e32 v[46:47], v[46:47], v[12:13]
	v_fma_f64 v[36:37], v[40:41], v[4:5], v[36:37]
	v_fma_f64 v[38:39], v[40:41], v[6:7], -v[38:39]
	ds_load_b128 v[4:7], v240 offset:2720
	v_fma_f64 v[40:41], v[60:61], v[8:9], v[42:43]
	v_fma_f64 v[42:43], v[60:61], v[10:11], -v[58:59]
	v_fma_f64 v[56:57], v[44:45], v[12:13], v[62:63]
	v_fma_f64 v[44:45], v[44:45], v[14:15], -v[46:47]
	ds_load_b128 v[8:11], v240 offset:5440
	ds_load_b128 v[12:15], v240 offset:8160
	v_add_f64_e32 v[58:59], v[18:19], v[22:23]
	v_add_f64_e32 v[62:63], v[26:27], v[30:31]
	s_wait_dscnt 0x3
	v_add_f64_e32 v[64:65], v[0:1], v[32:33]
	global_wb scope:SCOPE_SE
	s_wait_dscnt 0x0
	s_barrier_signal -1
	s_barrier_wait -1
	global_inv scope:SCOPE_SE
	v_add_f64_e32 v[60:61], v[24:25], v[28:29]
	v_add_f64_e32 v[74:75], v[10:11], v[18:19]
	;; [unrolled: 1-line block ×7, first 2 shown]
	v_add_f64_e64 v[66:67], v[34:35], -v[38:39]
	v_add_f64_e32 v[34:35], v[2:3], v[34:35]
	v_add_f64_e32 v[68:69], v[4:5], v[40:41]
	;; [unrolled: 1-line block ×5, first 2 shown]
	v_add_f64_e64 v[40:41], v[40:41], -v[56:57]
	v_add_f64_e64 v[42:43], v[42:43], -v[44:45]
	v_fma_f64 v[62:63], v[62:63], -0.5, v[14:15]
	v_add_f64_e64 v[32:33], v[32:33], -v[36:37]
	v_fma_f64 v[0:1], v[46:47], -0.5, v[0:1]
	v_fma_f64 v[2:3], v[48:49], -0.5, v[2:3]
	v_add_f64_e64 v[46:47], v[18:19], -v[22:23]
	v_fma_f64 v[48:49], v[54:55], -0.5, v[8:9]
	v_add_f64_e32 v[8:9], v[64:65], v[36:37]
	v_add_f64_e64 v[54:55], v[26:27], -v[30:31]
	v_fma_f64 v[6:7], v[52:53], -0.5, v[6:7]
	v_fma_f64 v[52:53], v[58:59], -0.5, v[10:11]
	v_add_f64_e32 v[10:11], v[34:35], v[38:39]
	v_add_f64_e32 v[14:15], v[70:71], v[44:45]
	v_fma_f64 v[58:59], v[60:61], -0.5, v[12:13]
	v_add_f64_e64 v[60:61], v[24:25], -v[28:29]
	v_fma_f64 v[4:5], v[50:51], -0.5, v[4:5]
	v_add_f64_e64 v[50:51], v[16:17], -v[20:21]
	v_add_f64_e32 v[16:17], v[72:73], v[20:21]
	v_add_f64_e32 v[18:19], v[74:75], v[22:23]
	;; [unrolled: 1-line block ×5, first 2 shown]
	v_fma_f64 v[24:25], v[66:67], s[2:3], v[0:1]
	s_wait_alu 0xfffe
	v_fma_f64 v[26:27], v[32:33], s[8:9], v[2:3]
	v_fma_f64 v[28:29], v[66:67], s[8:9], v[0:1]
	;; [unrolled: 1-line block ×7, first 2 shown]
	scratch_load_b32 v48, off, off offset:132 th:TH_LOAD_LU ; 4-byte Folded Reload
	v_fma_f64 v[0:1], v[54:55], s[2:3], v[58:59]
	v_fma_f64 v[2:3], v[60:61], s[8:9], v[62:63]
	;; [unrolled: 1-line block ×8, first 2 shown]
	s_wait_loadcnt 0x0
	ds_store_b128 v48, v[8:11]
	ds_store_b128 v48, v[24:27] offset:1088
	ds_store_b128 v48, v[28:31] offset:2176
	scratch_load_b32 v8, off, off offset:124 th:TH_LOAD_LU ; 4-byte Folded Reload
	s_wait_loadcnt 0x0
	ds_store_b128 v8, v[12:15]
	ds_store_b128 v8, v[32:35] offset:1088
	ds_store_b128 v8, v[36:39] offset:2176
	scratch_load_b32 v8, off, off offset:116 th:TH_LOAD_LU ; 4-byte Folded Reload
	;; [unrolled: 5-line block ×3, first 2 shown]
	s_wait_loadcnt 0x0
	ds_store_b128 v8, v[20:23]
	ds_store_b128 v8, v[0:3] offset:1088
	ds_store_b128 v8, v[4:7] offset:2176
	global_wb scope:SCOPE_SE
	s_wait_dscnt 0x0
	s_barrier_signal -1
	s_barrier_wait -1
	global_inv scope:SCOPE_SE
	ds_load_b128 v[8:11], v240
	ds_load_b128 v[12:15], v240 offset:3264
	ds_load_b128 v[20:23], v240 offset:6528
	;; [unrolled: 1-line block ×9, first 2 shown]
	s_and_saveexec_b32 s1, s0
	s_cbranch_execz .LBB0_19
; %bb.18:
	ds_load_b128 v[0:3], v240 offset:2720
	ds_load_b128 v[4:7], v240 offset:5984
	;; [unrolled: 1-line block ×8, first 2 shown]
	s_wait_dscnt 0x0
	scratch_store_b128 off, v[36:39], off offset:28 ; 16-byte Folded Spill
	ds_load_b128 v[36:39], v240 offset:28832
	s_wait_dscnt 0x0
	scratch_store_b128 off, v[36:39], off offset:12 ; 16-byte Folded Spill
	ds_load_b128 v[36:39], v240 offset:32096
	s_wait_dscnt 0x0
	scratch_store_b128 off, v[36:39], off offset:44 ; 16-byte Folded Spill
.LBB0_19:
	s_wait_alu 0xfffe
	s_or_b32 exec_lo, exec_lo, s1
	s_wait_dscnt 0x6
	v_mul_f64_e32 v[36:37], v[106:107], v[32:33]
	s_wait_dscnt 0x4
	v_mul_f64_e32 v[38:39], v[126:127], v[40:41]
	s_wait_dscnt 0x2
	v_mul_f64_e32 v[52:53], v[134:135], v[44:45]
	s_wait_dscnt 0x0
	v_mul_f64_e32 v[54:55], v[138:139], v[48:49]
	v_mul_f64_e32 v[56:57], v[122:123], v[12:13]
	v_mul_f64_e32 v[58:59], v[106:107], v[34:35]
	;; [unrolled: 1-line block ×10, first 2 shown]
	s_mov_b32 s8, 0x134454ff
	s_mov_b32 s9, 0xbfee6f0e
	;; [unrolled: 1-line block ×3, first 2 shown]
	s_wait_alu 0xfffe
	s_mov_b32 s2, s8
	s_mov_b32 s16, 0x4755a5e
	;; [unrolled: 1-line block ×4, first 2 shown]
	s_wait_alu 0xfffe
	s_mov_b32 s10, s16
	s_mov_b32 s18, 0x372fe950
	;; [unrolled: 1-line block ×6, first 2 shown]
	s_wait_alu 0xfffe
	s_mov_b32 s22, s18
	s_mov_b32 s25, 0xbfe9e377
	s_mov_b32 s24, s20
	v_fma_f64 v[34:35], v[104:105], v[34:35], -v[36:37]
	v_fma_f64 v[36:37], v[124:125], v[42:43], -v[38:39]
	;; [unrolled: 1-line block ×4, first 2 shown]
	v_mul_f64_e32 v[46:47], v[130:131], v[22:23]
	v_mul_f64_e32 v[50:51], v[130:131], v[20:21]
	;; [unrolled: 1-line block ×4, first 2 shown]
	v_fma_f64 v[32:33], v[104:105], v[32:33], v[58:59]
	v_fma_f64 v[40:41], v[124:125], v[40:41], v[60:61]
	;; [unrolled: 1-line block ×4, first 2 shown]
	v_fma_f64 v[14:15], v[120:121], v[14:15], -v[56:57]
	v_fma_f64 v[16:17], v[112:113], v[16:17], v[66:67]
	v_fma_f64 v[28:29], v[116:117], v[28:29], v[68:69]
	v_fma_f64 v[18:19], v[112:113], v[18:19], -v[70:71]
	v_fma_f64 v[30:31], v[116:117], v[30:31], -v[72:73]
	v_fma_f64 v[12:13], v[120:121], v[12:13], v[74:75]
	v_add_f64_e64 v[70:71], v[34:35], -v[36:37]
	v_add_f64_e32 v[56:57], v[36:37], v[38:39]
	v_add_f64_e32 v[58:59], v[34:35], v[42:43]
	v_fma_f64 v[20:21], v[128:129], v[20:21], v[46:47]
	v_fma_f64 v[22:23], v[128:129], v[22:23], -v[50:51]
	v_fma_f64 v[24:25], v[108:109], v[24:25], v[52:53]
	v_fma_f64 v[26:27], v[108:109], v[26:27], -v[54:55]
	v_add_f64_e64 v[68:69], v[34:35], -v[42:43]
	v_add_f64_e64 v[72:73], v[42:43], -v[38:39]
	v_add_f64_e32 v[46:47], v[40:41], v[44:45]
	v_add_f64_e32 v[50:51], v[32:33], v[48:49]
	v_add_f64_e64 v[52:53], v[32:33], -v[48:49]
	v_add_f64_e64 v[54:55], v[40:41], -v[44:45]
	;; [unrolled: 1-line block ×10, first 2 shown]
	v_fma_f64 v[56:57], v[56:57], -0.5, v[14:15]
	v_fma_f64 v[58:59], v[58:59], -0.5, v[14:15]
	v_add_f64_e32 v[62:63], v[20:21], v[28:29]
	v_add_f64_e32 v[66:67], v[22:23], v[30:31]
	;; [unrolled: 1-line block ×6, first 2 shown]
	v_fma_f64 v[46:47], v[46:47], -0.5, v[12:13]
	v_fma_f64 v[50:51], v[50:51], -0.5, v[12:13]
	v_add_f64_e32 v[12:13], v[12:13], v[32:33]
	v_add_f64_e32 v[14:15], v[14:15], v[34:35]
	v_add_f64_e64 v[86:87], v[22:23], -v[30:31]
	v_add_f64_e64 v[32:33], v[40:41], -v[32:33]
	;; [unrolled: 1-line block ×5, first 2 shown]
	v_fma_f64 v[80:81], v[52:53], s[2:3], v[56:57]
	v_fma_f64 v[82:83], v[54:55], s[8:9], v[58:59]
	;; [unrolled: 1-line block ×4, first 2 shown]
	v_fma_f64 v[34:35], v[60:61], -0.5, v[8:9]
	v_add_f64_e64 v[60:61], v[20:21], -v[28:29]
	v_fma_f64 v[8:9], v[62:63], -0.5, v[8:9]
	v_add_f64_e64 v[62:63], v[24:25], -v[16:17]
	v_fma_f64 v[64:65], v[64:65], -0.5, v[10:11]
	v_fma_f64 v[10:11], v[66:67], -0.5, v[10:11]
	v_add_f64_e32 v[66:67], v[70:71], v[72:73]
	v_add_f64_e32 v[70:71], v[74:75], v[76:77]
	v_fma_f64 v[72:73], v[68:69], s[8:9], v[46:47]
	v_fma_f64 v[46:47], v[68:69], s[2:3], v[46:47]
	;; [unrolled: 1-line block ×4, first 2 shown]
	v_add_f64_e32 v[26:27], v[90:91], v[26:27]
	v_add_f64_e32 v[12:13], v[12:13], v[40:41]
	;; [unrolled: 1-line block ×6, first 2 shown]
	v_fma_f64 v[76:77], v[54:55], s[10:11], v[80:81]
	v_fma_f64 v[80:81], v[52:53], s[10:11], v[82:83]
	;; [unrolled: 1-line block ×4, first 2 shown]
	v_add_f64_e64 v[56:57], v[20:21], -v[24:25]
	v_add_f64_e64 v[20:21], v[24:25], -v[20:21]
	v_add_f64_e32 v[24:25], v[84:85], v[24:25]
	v_add_f64_e64 v[58:59], v[28:29], -v[16:17]
	v_fma_f64 v[36:37], v[86:87], s[8:9], v[34:35]
	v_fma_f64 v[90:91], v[60:61], s[2:3], v[64:65]
	;; [unrolled: 1-line block ×8, first 2 shown]
	v_add_f64_e64 v[82:83], v[16:17], -v[28:29]
	v_fma_f64 v[34:35], v[86:87], s[2:3], v[34:35]
	v_fma_f64 v[84:85], v[88:89], s[2:3], v[8:9]
	;; [unrolled: 1-line block ×4, first 2 shown]
	v_add_f64_e32 v[18:19], v[26:27], v[18:19]
	v_add_f64_e32 v[12:13], v[12:13], v[44:45]
	;; [unrolled: 1-line block ×3, first 2 shown]
	v_fma_f64 v[68:69], v[66:67], s[18:19], v[76:77]
	v_fma_f64 v[76:77], v[70:71], s[18:19], v[80:81]
	;; [unrolled: 1-line block ×4, first 2 shown]
	v_add_f64_e32 v[16:17], v[24:25], v[16:17]
	v_add_f64_e32 v[56:57], v[56:57], v[58:59]
	;; [unrolled: 1-line block ×3, first 2 shown]
	v_fma_f64 v[24:25], v[88:89], s[16:17], v[36:37]
	v_fma_f64 v[36:37], v[62:63], s[10:11], v[90:91]
	;; [unrolled: 1-line block ×8, first 2 shown]
	v_add_f64_e32 v[20:21], v[20:21], v[82:83]
	v_fma_f64 v[26:27], v[88:89], s[10:11], v[34:35]
	v_fma_f64 v[34:35], v[86:87], s[16:17], v[84:85]
	;; [unrolled: 1-line block ×4, first 2 shown]
	v_add_f64_e32 v[18:19], v[18:19], v[30:31]
	v_add_f64_e32 v[12:13], v[12:13], v[48:49]
	;; [unrolled: 1-line block ×3, first 2 shown]
	v_mul_f64_e32 v[50:51], s[16:17], v[68:69]
	v_mul_f64_e32 v[68:69], s[20:21], v[68:69]
	;; [unrolled: 1-line block ×5, first 2 shown]
	s_wait_alu 0xfffe
	v_mul_f64_e32 v[52:53], s[22:23], v[52:53]
	v_mul_f64_e32 v[66:67], s[16:17], v[54:55]
	;; [unrolled: 1-line block ×3, first 2 shown]
	v_add_f64_e32 v[16:17], v[16:17], v[28:29]
	v_fma_f64 v[42:43], v[56:57], s[18:19], v[24:25]
	v_fma_f64 v[72:73], v[58:59], s[18:19], v[36:37]
	;; [unrolled: 1-line block ×8, first 2 shown]
	v_add_f64_e32 v[10:11], v[18:19], v[14:15]
	v_add_f64_e64 v[14:15], v[18:19], -v[14:15]
	v_fma_f64 v[36:37], v[60:61], s[20:21], v[50:51]
	v_fma_f64 v[60:61], v[60:61], s[10:11], v[68:69]
	v_fma_f64 v[44:45], v[46:47], s[18:19], v[62:63]
	v_fma_f64 v[46:47], v[46:47], s[2:3], v[70:71]
	v_fma_f64 v[50:51], v[32:33], s[22:23], v[64:65]
	v_fma_f64 v[52:53], v[32:33], s[2:3], v[52:53]
	v_fma_f64 v[62:63], v[40:41], s[24:25], v[66:67]
	v_fma_f64 v[54:55], v[40:41], s[10:11], v[54:55]
	v_add_f64_e32 v[8:9], v[16:17], v[12:13]
	v_add_f64_e64 v[12:13], v[16:17], -v[12:13]
	v_add_f64_e32 v[16:17], v[42:43], v[36:37]
	v_add_f64_e32 v[18:19], v[72:73], v[60:61]
	v_add_f64_e32 v[20:21], v[34:35], v[44:45]
	v_add_f64_e32 v[22:23], v[38:39], v[46:47]
	v_add_f64_e32 v[24:25], v[56:57], v[50:51]
	v_add_f64_e32 v[26:27], v[74:75], v[52:53]
	v_add_f64_e32 v[28:29], v[48:49], v[62:63]
	v_add_f64_e32 v[30:31], v[58:59], v[54:55]
	v_add_f64_e64 v[32:33], v[42:43], -v[36:37]
	v_add_f64_e64 v[36:37], v[34:35], -v[44:45]
	v_add_f64_e64 v[34:35], v[72:73], -v[60:61]
	v_add_f64_e64 v[38:39], v[38:39], -v[46:47]
	v_add_f64_e64 v[40:41], v[56:57], -v[50:51]
	v_add_f64_e64 v[42:43], v[74:75], -v[52:53]
	v_add_f64_e64 v[44:45], v[48:49], -v[62:63]
	v_add_f64_e64 v[46:47], v[58:59], -v[54:55]
	ds_store_b128 v240, v[8:11]
	ds_store_b128 v240, v[16:19] offset:3264
	ds_store_b128 v240, v[20:23] offset:6528
	;; [unrolled: 1-line block ×9, first 2 shown]
	s_and_saveexec_b32 s1, s0
	s_cbranch_execz .LBB0_21
; %bb.20:
	s_clause 0x8
	scratch_load_b128 v[44:47], off, off offset:376 th:TH_LOAD_LU
	scratch_load_b128 v[70:73], off, off offset:408 th:TH_LOAD_LU
	scratch_load_b128 v[74:77], off, off offset:424 th:TH_LOAD_LU
	scratch_load_b128 v[80:83], off, off offset:28 th:TH_LOAD_LU
	scratch_load_b128 v[66:69], off, off offset:392 th:TH_LOAD_LU
	scratch_load_b128 v[84:87], off, off offset:44 th:TH_LOAD_LU
	scratch_load_b128 v[58:61], off, off offset:344 th:TH_LOAD_LU
	scratch_load_b128 v[62:65], off, off offset:360 th:TH_LOAD_LU
	scratch_load_b128 v[50:53], off, off offset:312 th:TH_LOAD_LU
	s_wait_loadcnt 0x8
	v_mul_f64_e32 v[8:9], v[46:47], v[176:177]
	v_mul_f64_e32 v[16:17], v[46:47], v[178:179]
	scratch_load_b128 v[46:49], off, off offset:296 th:TH_LOAD_LU ; 16-byte Folded Reload
	s_wait_loadcnt 0x6
	v_mul_f64_e32 v[12:13], v[76:77], v[80:81]
	v_mul_f64_e32 v[22:23], v[76:77], v[82:83]
	s_clause 0x1
	scratch_load_b128 v[54:57], off, off offset:328 th:TH_LOAD_LU
	scratch_load_b128 v[76:79], off, off offset:12 th:TH_LOAD_LU
	v_mul_f64_e32 v[10:11], v[72:73], v[160:161]
	s_wait_loadcnt 0x6
	v_mul_f64_e32 v[14:15], v[68:69], v[84:85]
	v_mul_f64_e32 v[18:19], v[72:73], v[162:163]
	;; [unrolled: 1-line block ×3, first 2 shown]
	s_wait_loadcnt 0x5
	v_mul_f64_e32 v[28:29], v[60:61], v[164:165]
	s_wait_loadcnt 0x4
	v_mul_f64_e32 v[30:31], v[64:65], v[156:157]
	v_mul_f64_e32 v[38:39], v[60:61], v[166:167]
	;; [unrolled: 1-line block ×3, first 2 shown]
	s_wait_loadcnt 0x3
	v_mul_f64_e32 v[26:27], v[52:53], v[172:173]
	v_mul_f64_e32 v[34:35], v[52:53], v[174:175]
	v_fma_f64 v[8:9], v[44:45], v[178:179], -v[8:9]
	v_fma_f64 v[16:17], v[44:45], v[176:177], v[16:17]
	v_fma_f64 v[12:13], v[74:75], v[82:83], -v[12:13]
	v_fma_f64 v[22:23], v[74:75], v[80:81], v[22:23]
	v_fma_f64 v[10:11], v[70:71], v[162:163], -v[10:11]
	v_fma_f64 v[14:15], v[66:67], v[86:87], -v[14:15]
	v_fma_f64 v[18:19], v[70:71], v[160:161], v[18:19]
	v_fma_f64 v[20:21], v[66:67], v[84:85], v[20:21]
	v_fma_f64 v[28:29], v[58:59], v[166:167], -v[28:29]
	v_fma_f64 v[30:31], v[62:63], v[158:159], -v[30:31]
	v_fma_f64 v[38:39], v[58:59], v[164:165], v[38:39]
	v_fma_f64 v[40:41], v[62:63], v[156:157], v[40:41]
	v_fma_f64 v[26:27], v[50:51], v[174:175], -v[26:27]
	v_fma_f64 v[34:35], v[50:51], v[172:173], v[34:35]
	v_add_f64_e64 v[58:59], v[8:9], -v[10:11]
	v_add_f64_e32 v[44:45], v[8:9], v[14:15]
	v_add_f64_e64 v[50:51], v[18:19], -v[22:23]
	v_add_f64_e64 v[60:61], v[14:15], -v[12:13]
	;; [unrolled: 1-line block ×3, first 2 shown]
	v_add_f64_e32 v[52:53], v[28:29], v[30:31]
	v_add_f64_e64 v[66:67], v[12:13], -v[14:15]
	v_add_f64_e32 v[68:69], v[38:39], v[40:41]
	v_add_f64_e64 v[80:81], v[16:17], -v[18:19]
	v_add_f64_e64 v[82:83], v[20:21], -v[22:23]
	;; [unrolled: 1-line block ×5, first 2 shown]
	v_add_f64_e32 v[88:89], v[26:27], v[2:3]
	v_add_f64_e32 v[92:93], v[34:35], v[0:1]
	;; [unrolled: 1-line block ×4, first 2 shown]
	s_wait_loadcnt 0x2
	v_mul_f64_e32 v[24:25], v[48:49], v[4:5]
	v_mul_f64_e32 v[42:43], v[48:49], v[6:7]
	v_add_f64_e32 v[48:49], v[16:17], v[20:21]
	s_wait_loadcnt 0x0
	v_mul_f64_e32 v[32:33], v[56:57], v[76:77]
	v_mul_f64_e32 v[36:37], v[56:57], v[78:79]
	v_add_f64_e64 v[56:57], v[10:11], -v[12:13]
	v_fma_f64 v[6:7], v[46:47], v[6:7], -v[24:25]
	v_add_f64_e32 v[24:25], v[10:11], v[12:13]
	v_fma_f64 v[4:5], v[46:47], v[4:5], v[42:43]
	v_fma_f64 v[32:33], v[54:55], v[78:79], -v[32:33]
	v_fma_f64 v[36:37], v[54:55], v[76:77], v[36:37]
	v_add_f64_e32 v[42:43], v[18:19], v[22:23]
	v_add_f64_e64 v[46:47], v[16:17], -v[20:21]
	v_add_f64_e64 v[54:55], v[8:9], -v[14:15]
	;; [unrolled: 1-line block ×3, first 2 shown]
	v_fma_f64 v[44:45], v[44:45], -0.5, v[6:7]
	v_fma_f64 v[24:25], v[24:25], -0.5, v[6:7]
	;; [unrolled: 1-line block ×3, first 2 shown]
	v_add_f64_e32 v[62:63], v[26:27], v[32:33]
	v_add_f64_e32 v[70:71], v[34:35], v[36:37]
	v_fma_f64 v[42:43], v[42:43], -0.5, v[4:5]
	v_add_f64_e32 v[6:7], v[6:7], v[8:9]
	v_add_f64_e32 v[4:5], v[4:5], v[16:17]
	v_add_f64_e64 v[76:77], v[34:35], -v[36:37]
	v_add_f64_e64 v[8:9], v[26:27], -v[32:33]
	v_fma_f64 v[16:17], v[52:53], -0.5, v[2:3]
	v_add_f64_e32 v[52:53], v[58:59], v[60:61]
	v_add_f64_e32 v[58:59], v[64:65], v[66:67]
	v_fma_f64 v[60:61], v[68:69], -0.5, v[0:1]
	v_add_f64_e64 v[94:95], v[40:41], -v[36:37]
	v_fma_f64 v[74:75], v[50:51], s[2:3], v[44:45]
	v_fma_f64 v[72:73], v[46:47], s[8:9], v[24:25]
	;; [unrolled: 1-line block ×4, first 2 shown]
	v_fma_f64 v[2:3], v[62:63], -0.5, v[2:3]
	v_fma_f64 v[0:1], v[70:71], -0.5, v[0:1]
	v_fma_f64 v[62:63], v[54:55], s[2:3], v[42:43]
	v_fma_f64 v[64:65], v[56:57], s[8:9], v[48:49]
	;; [unrolled: 1-line block ×4, first 2 shown]
	v_add_f64_e32 v[6:7], v[6:7], v[10:11]
	v_add_f64_e32 v[10:11], v[38:39], v[92:93]
	;; [unrolled: 1-line block ×3, first 2 shown]
	v_add_f64_e64 v[70:71], v[30:31], -v[32:33]
	v_fma_f64 v[18:19], v[76:77], s[8:9], v[16:17]
	v_fma_f64 v[16:17], v[76:77], s[2:3], v[16:17]
	;; [unrolled: 1-line block ×7, first 2 shown]
	v_add_f64_e64 v[46:47], v[26:27], -v[28:29]
	v_add_f64_e64 v[26:27], v[28:29], -v[26:27]
	v_add_f64_e32 v[28:29], v[28:29], v[88:89]
	v_add_f64_e64 v[50:51], v[32:33], -v[30:31]
	v_add_f64_e64 v[72:73], v[34:35], -v[38:39]
	v_add_f64_e64 v[74:75], v[36:37], -v[40:41]
	v_add_f64_e64 v[34:35], v[38:39], -v[34:35]
	v_fma_f64 v[38:39], v[78:79], s[2:3], v[2:3]
	v_fma_f64 v[2:3], v[78:79], s[8:9], v[2:3]
	;; [unrolled: 1-line block ×8, first 2 shown]
	v_add_f64_e32 v[6:7], v[6:7], v[12:13]
	v_add_f64_e32 v[10:11], v[40:41], v[10:11]
	v_add_f64_e32 v[4:5], v[4:5], v[22:23]
	v_fma_f64 v[12:13], v[78:79], s[16:17], v[18:19]
	v_fma_f64 v[16:17], v[78:79], s[10:11], v[16:17]
	;; [unrolled: 1-line block ×8, first 2 shown]
	v_add_f64_e32 v[28:29], v[30:31], v[28:29]
	v_add_f64_e32 v[46:47], v[46:47], v[50:51]
	;; [unrolled: 1-line block ×5, first 2 shown]
	v_fma_f64 v[18:19], v[76:77], s[16:17], v[38:39]
	v_fma_f64 v[2:3], v[76:77], s[10:11], v[2:3]
	v_fma_f64 v[30:31], v[8:9], s[10:11], v[86:87]
	v_fma_f64 v[40:41], v[82:83], s[18:19], v[64:65]
	v_fma_f64 v[48:49], v[82:83], s[18:19], v[48:49]
	v_fma_f64 v[0:1], v[8:9], s[16:17], v[0:1]
	v_fma_f64 v[42:43], v[80:81], s[18:19], v[42:43]
	v_fma_f64 v[38:39], v[80:81], s[18:19], v[62:63]
	v_add_f64_e32 v[6:7], v[6:7], v[14:15]
	v_add_f64_e32 v[10:11], v[36:37], v[10:11]
	;; [unrolled: 1-line block ×3, first 2 shown]
	v_mul_f64_e32 v[52:53], s[24:25], v[54:55]
	v_mul_f64_e32 v[56:57], s[22:23], v[66:67]
	v_mul_f64_e32 v[60:61], s[18:19], v[44:45]
	v_fma_f64 v[8:9], v[90:91], s[16:17], v[58:59]
	v_mul_f64_e32 v[58:59], s[20:21], v[24:25]
	v_mul_f64_e32 v[24:25], s[16:17], v[24:25]
	;; [unrolled: 1-line block ×5, first 2 shown]
	v_add_f64_e32 v[28:29], v[32:33], v[28:29]
	v_fma_f64 v[12:13], v[46:47], s[18:19], v[12:13]
	v_fma_f64 v[32:33], v[26:27], s[18:19], v[2:3]
	;; [unrolled: 1-line block ×16, first 2 shown]
	v_add_f64_e64 v[2:3], v[28:29], -v[6:7]
	v_add_f64_e64 v[0:1], v[10:11], -v[4:5]
	v_add_f64_e32 v[6:7], v[6:7], v[28:29]
	v_add_f64_e32 v[4:5], v[4:5], v[10:11]
	v_add_f64_e64 v[10:11], v[12:13], -v[22:23]
	v_add_f64_e64 v[14:15], v[20:21], -v[26:27]
	;; [unrolled: 1-line block ×3, first 2 shown]
	v_add_f64_e32 v[30:31], v[32:33], v[36:37]
	v_add_f64_e32 v[34:35], v[16:17], v[50:51]
	;; [unrolled: 1-line block ×8, first 2 shown]
	v_add_f64_e64 v[38:39], v[16:17], -v[50:51]
	v_add_f64_e64 v[36:37], v[8:9], -v[42:43]
	;; [unrolled: 1-line block ×5, first 2 shown]
	ds_store_b128 v240, v[4:7] offset:2720
	ds_store_b128 v240, v[32:35] offset:5984
	;; [unrolled: 1-line block ×10, first 2 shown]
.LBB0_21:
	s_wait_alu 0xfffe
	s_or_b32 exec_lo, exec_lo, s1
	global_wb scope:SCOPE_SE
	s_wait_storecnt_dscnt 0x0
	s_barrier_signal -1
	s_barrier_wait -1
	global_inv scope:SCOPE_SE
	s_and_b32 exec_lo, exec_lo, vcc_lo
	s_cbranch_execz .LBB0_23
; %bb.22:
	global_load_b128 v[0:3], v255, s[12:13]
	ds_load_b128 v[4:7], v240
	ds_load_b128 v[8:11], v255 offset:1920
	ds_load_b128 v[12:15], v255 offset:30720
	s_mov_b32 s0, 0x10101010
	s_mov_b32 s1, 0x3f401010
	s_mul_u64 s[2:3], s[4:5], 0x780
	scratch_load_b32 v19, off, off th:TH_LOAD_LU ; 4-byte Folded Reload
	s_wait_loadcnt_dscnt 0x102
	v_mul_f64_e32 v[16:17], v[6:7], v[2:3]
	v_mul_f64_e32 v[2:3], v[4:5], v[2:3]
	s_delay_alu instid0(VALU_DEP_2) | instskip(NEXT) | instid1(VALU_DEP_2)
	v_fma_f64 v[4:5], v[4:5], v[0:1], v[16:17]
	v_fma_f64 v[2:3], v[0:1], v[6:7], -v[2:3]
	scratch_load_b64 v[0:1], off, off offset:4 th:TH_LOAD_LU ; 8-byte Folded Reload
	s_wait_loadcnt 0x1
	v_mad_co_u64_u32 v[16:17], null, s4, v19, 0
	s_wait_alu 0xfffe
	v_mul_f64_e32 v[2:3], s[0:1], v[2:3]
	s_wait_loadcnt 0x0
	v_mov_b32_e32 v18, v0
	v_mul_f64_e32 v[0:1], s[0:1], v[4:5]
	s_delay_alu instid0(VALU_DEP_4) | instskip(NEXT) | instid1(VALU_DEP_3)
	v_mov_b32_e32 v5, v17
	v_mad_co_u64_u32 v[6:7], null, s6, v18, 0
	s_delay_alu instid0(VALU_DEP_1) | instskip(NEXT) | instid1(VALU_DEP_1)
	v_mov_b32_e32 v4, v7
	v_mad_co_u64_u32 v[17:18], null, s7, v18, v[4:5]
	s_delay_alu instid0(VALU_DEP_3) | instskip(NEXT) | instid1(VALU_DEP_2)
	v_mad_co_u64_u32 v[4:5], null, s5, v19, v[5:6]
	v_mov_b32_e32 v7, v17
	s_delay_alu instid0(VALU_DEP_2) | instskip(NEXT) | instid1(VALU_DEP_2)
	v_mov_b32_e32 v17, v4
	v_lshlrev_b64_e32 v[4:5], 4, v[6:7]
	s_delay_alu instid0(VALU_DEP_2) | instskip(NEXT) | instid1(VALU_DEP_2)
	v_lshlrev_b64_e32 v[6:7], 4, v[16:17]
	v_add_co_u32 v20, vcc_lo, s14, v4
	s_delay_alu instid0(VALU_DEP_3) | instskip(NEXT) | instid1(VALU_DEP_2)
	v_add_co_ci_u32_e32 v21, vcc_lo, s15, v5, vcc_lo
	v_add_co_u32 v4, vcc_lo, v20, v6
	s_wait_alu 0xfffd
	s_delay_alu instid0(VALU_DEP_2) | instskip(NEXT) | instid1(VALU_DEP_2)
	v_add_co_ci_u32_e32 v5, vcc_lo, v21, v7, vcc_lo
	v_add_co_u32 v16, vcc_lo, v4, s2
	global_store_b128 v[4:5], v[0:3], off
	s_wait_alu 0xfffd
	v_add_co_ci_u32_e32 v17, vcc_lo, s3, v5, vcc_lo
	global_load_b128 v[0:3], v255, s[12:13] offset:1920
	s_wait_loadcnt_dscnt 0x1
	v_mul_f64_e32 v[6:7], v[10:11], v[2:3]
	v_mul_f64_e32 v[2:3], v[8:9], v[2:3]
	s_delay_alu instid0(VALU_DEP_2) | instskip(NEXT) | instid1(VALU_DEP_2)
	v_fma_f64 v[6:7], v[8:9], v[0:1], v[6:7]
	v_fma_f64 v[2:3], v[0:1], v[10:11], -v[2:3]
	s_delay_alu instid0(VALU_DEP_2) | instskip(NEXT) | instid1(VALU_DEP_2)
	v_mul_f64_e32 v[0:1], s[0:1], v[6:7]
	v_mul_f64_e32 v[2:3], s[0:1], v[2:3]
	global_store_b128 v[16:17], v[0:3], off
	global_load_b128 v[0:3], v255, s[12:13] offset:3840
	ds_load_b128 v[4:7], v255 offset:3840
	ds_load_b128 v[8:11], v255 offset:5760
	s_wait_loadcnt_dscnt 0x1
	v_mul_f64_e32 v[18:19], v[6:7], v[2:3]
	v_mul_f64_e32 v[2:3], v[4:5], v[2:3]
	s_delay_alu instid0(VALU_DEP_2) | instskip(NEXT) | instid1(VALU_DEP_2)
	v_fma_f64 v[4:5], v[4:5], v[0:1], v[18:19]
	v_fma_f64 v[2:3], v[0:1], v[6:7], -v[2:3]
	s_delay_alu instid0(VALU_DEP_2) | instskip(NEXT) | instid1(VALU_DEP_2)
	v_mul_f64_e32 v[0:1], s[0:1], v[4:5]
	v_mul_f64_e32 v[2:3], s[0:1], v[2:3]
	v_add_co_u32 v4, vcc_lo, v16, s2
	s_wait_alu 0xfffd
	v_add_co_ci_u32_e32 v5, vcc_lo, s3, v17, vcc_lo
	s_delay_alu instid0(VALU_DEP_2) | instskip(SKIP_1) | instid1(VALU_DEP_2)
	v_add_co_u32 v16, vcc_lo, v4, s2
	s_wait_alu 0xfffd
	v_add_co_ci_u32_e32 v17, vcc_lo, s3, v5, vcc_lo
	global_store_b128 v[4:5], v[0:3], off
	global_load_b128 v[0:3], v255, s[12:13] offset:5760
	s_wait_loadcnt_dscnt 0x0
	v_mul_f64_e32 v[6:7], v[10:11], v[2:3]
	v_mul_f64_e32 v[2:3], v[8:9], v[2:3]
	s_delay_alu instid0(VALU_DEP_2) | instskip(NEXT) | instid1(VALU_DEP_2)
	v_fma_f64 v[6:7], v[8:9], v[0:1], v[6:7]
	v_fma_f64 v[2:3], v[0:1], v[10:11], -v[2:3]
	s_delay_alu instid0(VALU_DEP_2) | instskip(NEXT) | instid1(VALU_DEP_2)
	v_mul_f64_e32 v[0:1], s[0:1], v[6:7]
	v_mul_f64_e32 v[2:3], s[0:1], v[2:3]
	global_store_b128 v[16:17], v[0:3], off
	global_load_b128 v[0:3], v255, s[12:13] offset:7680
	ds_load_b128 v[4:7], v255 offset:7680
	ds_load_b128 v[8:11], v255 offset:9600
	s_wait_loadcnt_dscnt 0x1
	v_mul_f64_e32 v[18:19], v[6:7], v[2:3]
	v_mul_f64_e32 v[2:3], v[4:5], v[2:3]
	s_delay_alu instid0(VALU_DEP_2) | instskip(NEXT) | instid1(VALU_DEP_2)
	v_fma_f64 v[4:5], v[4:5], v[0:1], v[18:19]
	v_fma_f64 v[2:3], v[0:1], v[6:7], -v[2:3]
	s_delay_alu instid0(VALU_DEP_2) | instskip(NEXT) | instid1(VALU_DEP_2)
	v_mul_f64_e32 v[0:1], s[0:1], v[4:5]
	v_mul_f64_e32 v[2:3], s[0:1], v[2:3]
	v_add_co_u32 v4, vcc_lo, v16, s2
	s_wait_alu 0xfffd
	v_add_co_ci_u32_e32 v5, vcc_lo, s3, v17, vcc_lo
	s_delay_alu instid0(VALU_DEP_2) | instskip(SKIP_1) | instid1(VALU_DEP_2)
	v_add_co_u32 v16, vcc_lo, v4, s2
	s_wait_alu 0xfffd
	v_add_co_ci_u32_e32 v17, vcc_lo, s3, v5, vcc_lo
	global_store_b128 v[4:5], v[0:3], off
	;; [unrolled: 31-line block ×6, first 2 shown]
	global_load_b128 v[0:3], v255, s[12:13] offset:24960
	s_wait_loadcnt_dscnt 0x0
	v_mul_f64_e32 v[6:7], v[10:11], v[2:3]
	v_mul_f64_e32 v[2:3], v[8:9], v[2:3]
	s_delay_alu instid0(VALU_DEP_2) | instskip(NEXT) | instid1(VALU_DEP_2)
	v_fma_f64 v[6:7], v[8:9], v[0:1], v[6:7]
	v_fma_f64 v[2:3], v[0:1], v[10:11], -v[2:3]
	s_delay_alu instid0(VALU_DEP_2) | instskip(NEXT) | instid1(VALU_DEP_2)
	v_mul_f64_e32 v[0:1], s[0:1], v[6:7]
	v_mul_f64_e32 v[2:3], s[0:1], v[2:3]
	global_store_b128 v[16:17], v[0:3], off
	global_load_b128 v[0:3], v255, s[12:13] offset:26880
	ds_load_b128 v[4:7], v255 offset:26880
	ds_load_b128 v[8:11], v255 offset:28800
	s_wait_loadcnt_dscnt 0x1
	v_mul_f64_e32 v[18:19], v[6:7], v[2:3]
	v_mul_f64_e32 v[2:3], v[4:5], v[2:3]
	s_delay_alu instid0(VALU_DEP_2) | instskip(NEXT) | instid1(VALU_DEP_2)
	v_fma_f64 v[4:5], v[4:5], v[0:1], v[18:19]
	v_fma_f64 v[2:3], v[0:1], v[6:7], -v[2:3]
	s_delay_alu instid0(VALU_DEP_2) | instskip(NEXT) | instid1(VALU_DEP_2)
	v_mul_f64_e32 v[0:1], s[0:1], v[4:5]
	v_mul_f64_e32 v[2:3], s[0:1], v[2:3]
	v_add_co_u32 v4, vcc_lo, v16, s2
	s_wait_alu 0xfffd
	v_add_co_ci_u32_e32 v5, vcc_lo, s3, v17, vcc_lo
	global_store_b128 v[4:5], v[0:3], off
	global_load_b128 v[0:3], v255, s[12:13] offset:28800
	v_add_co_u32 v4, vcc_lo, v4, s2
	s_wait_alu 0xfffd
	v_add_co_ci_u32_e32 v5, vcc_lo, s3, v5, vcc_lo
	s_wait_loadcnt_dscnt 0x0
	v_mul_f64_e32 v[6:7], v[10:11], v[2:3]
	v_mul_f64_e32 v[2:3], v[8:9], v[2:3]
	s_delay_alu instid0(VALU_DEP_2) | instskip(NEXT) | instid1(VALU_DEP_2)
	v_fma_f64 v[6:7], v[8:9], v[0:1], v[6:7]
	v_fma_f64 v[2:3], v[0:1], v[10:11], -v[2:3]
	scratch_load_b32 v8, off, off offset:292 th:TH_LOAD_LU ; 4-byte Folded Reload
	v_mul_f64_e32 v[0:1], s[0:1], v[6:7]
	v_mul_f64_e32 v[2:3], s[0:1], v[2:3]
	global_store_b128 v[4:5], v[0:3], off
	global_load_b128 v[0:3], v255, s[12:13] offset:30720
	s_wait_loadcnt 0x1
	v_mad_co_u64_u32 v[6:7], null, s4, v8, 0
	s_wait_loadcnt 0x0
	v_mul_f64_e32 v[4:5], v[14:15], v[2:3]
	v_mul_f64_e32 v[2:3], v[12:13], v[2:3]
	s_delay_alu instid0(VALU_DEP_2) | instskip(NEXT) | instid1(VALU_DEP_2)
	v_fma_f64 v[4:5], v[12:13], v[0:1], v[4:5]
	v_fma_f64 v[2:3], v[0:1], v[14:15], -v[2:3]
	s_delay_alu instid0(VALU_DEP_2) | instskip(SKIP_1) | instid1(VALU_DEP_3)
	v_mul_f64_e32 v[0:1], s[0:1], v[4:5]
	v_mov_b32_e32 v4, v7
	v_mul_f64_e32 v[2:3], s[0:1], v[2:3]
	s_delay_alu instid0(VALU_DEP_2) | instskip(NEXT) | instid1(VALU_DEP_1)
	v_mad_co_u64_u32 v[4:5], null, s5, v8, v[4:5]
	v_mov_b32_e32 v7, v4
	s_delay_alu instid0(VALU_DEP_1) | instskip(NEXT) | instid1(VALU_DEP_1)
	v_lshlrev_b64_e32 v[4:5], 4, v[6:7]
	v_add_co_u32 v4, vcc_lo, v20, v4
	s_wait_alu 0xfffd
	s_delay_alu instid0(VALU_DEP_2)
	v_add_co_ci_u32_e32 v5, vcc_lo, v21, v5, vcc_lo
	global_store_b128 v[4:5], v[0:3], off
.LBB0_23:
	s_endpgm
	.section	.rodata,"a",@progbits
	.p2align	6, 0x0
	.amdhsa_kernel bluestein_single_fwd_len2040_dim1_dp_op_CI_CI
		.amdhsa_group_segment_fixed_size 32640
		.amdhsa_private_segment_fixed_size 924
		.amdhsa_kernarg_size 104
		.amdhsa_user_sgpr_count 2
		.amdhsa_user_sgpr_dispatch_ptr 0
		.amdhsa_user_sgpr_queue_ptr 0
		.amdhsa_user_sgpr_kernarg_segment_ptr 1
		.amdhsa_user_sgpr_dispatch_id 0
		.amdhsa_user_sgpr_private_segment_size 0
		.amdhsa_wavefront_size32 1
		.amdhsa_uses_dynamic_stack 0
		.amdhsa_enable_private_segment 1
		.amdhsa_system_sgpr_workgroup_id_x 1
		.amdhsa_system_sgpr_workgroup_id_y 0
		.amdhsa_system_sgpr_workgroup_id_z 0
		.amdhsa_system_sgpr_workgroup_info 0
		.amdhsa_system_vgpr_workitem_id 0
		.amdhsa_next_free_vgpr 256
		.amdhsa_next_free_sgpr 60
		.amdhsa_reserve_vcc 1
		.amdhsa_float_round_mode_32 0
		.amdhsa_float_round_mode_16_64 0
		.amdhsa_float_denorm_mode_32 3
		.amdhsa_float_denorm_mode_16_64 3
		.amdhsa_fp16_overflow 0
		.amdhsa_workgroup_processor_mode 1
		.amdhsa_memory_ordered 1
		.amdhsa_forward_progress 0
		.amdhsa_round_robin_scheduling 0
		.amdhsa_exception_fp_ieee_invalid_op 0
		.amdhsa_exception_fp_denorm_src 0
		.amdhsa_exception_fp_ieee_div_zero 0
		.amdhsa_exception_fp_ieee_overflow 0
		.amdhsa_exception_fp_ieee_underflow 0
		.amdhsa_exception_fp_ieee_inexact 0
		.amdhsa_exception_int_div_zero 0
	.end_amdhsa_kernel
	.text
.Lfunc_end0:
	.size	bluestein_single_fwd_len2040_dim1_dp_op_CI_CI, .Lfunc_end0-bluestein_single_fwd_len2040_dim1_dp_op_CI_CI
                                        ; -- End function
	.section	.AMDGPU.csdata,"",@progbits
; Kernel info:
; codeLenInByte = 29932
; NumSgprs: 62
; NumVgprs: 256
; ScratchSize: 924
; MemoryBound: 0
; FloatMode: 240
; IeeeMode: 1
; LDSByteSize: 32640 bytes/workgroup (compile time only)
; SGPRBlocks: 7
; VGPRBlocks: 31
; NumSGPRsForWavesPerEU: 62
; NumVGPRsForWavesPerEU: 256
; Occupancy: 5
; WaveLimiterHint : 1
; COMPUTE_PGM_RSRC2:SCRATCH_EN: 1
; COMPUTE_PGM_RSRC2:USER_SGPR: 2
; COMPUTE_PGM_RSRC2:TRAP_HANDLER: 0
; COMPUTE_PGM_RSRC2:TGID_X_EN: 1
; COMPUTE_PGM_RSRC2:TGID_Y_EN: 0
; COMPUTE_PGM_RSRC2:TGID_Z_EN: 0
; COMPUTE_PGM_RSRC2:TIDIG_COMP_CNT: 0
	.text
	.p2alignl 7, 3214868480
	.fill 96, 4, 3214868480
	.type	__hip_cuid_d0fa6e7352e4acf3,@object ; @__hip_cuid_d0fa6e7352e4acf3
	.section	.bss,"aw",@nobits
	.globl	__hip_cuid_d0fa6e7352e4acf3
__hip_cuid_d0fa6e7352e4acf3:
	.byte	0                               ; 0x0
	.size	__hip_cuid_d0fa6e7352e4acf3, 1

	.ident	"AMD clang version 19.0.0git (https://github.com/RadeonOpenCompute/llvm-project roc-6.4.0 25133 c7fe45cf4b819c5991fe208aaa96edf142730f1d)"
	.section	".note.GNU-stack","",@progbits
	.addrsig
	.addrsig_sym __hip_cuid_d0fa6e7352e4acf3
	.amdgpu_metadata
---
amdhsa.kernels:
  - .args:
      - .actual_access:  read_only
        .address_space:  global
        .offset:         0
        .size:           8
        .value_kind:     global_buffer
      - .actual_access:  read_only
        .address_space:  global
        .offset:         8
        .size:           8
        .value_kind:     global_buffer
      - .actual_access:  read_only
        .address_space:  global
        .offset:         16
        .size:           8
        .value_kind:     global_buffer
      - .actual_access:  read_only
        .address_space:  global
        .offset:         24
        .size:           8
        .value_kind:     global_buffer
      - .actual_access:  read_only
        .address_space:  global
        .offset:         32
        .size:           8
        .value_kind:     global_buffer
      - .offset:         40
        .size:           8
        .value_kind:     by_value
      - .address_space:  global
        .offset:         48
        .size:           8
        .value_kind:     global_buffer
      - .address_space:  global
        .offset:         56
        .size:           8
        .value_kind:     global_buffer
      - .address_space:  global
        .offset:         64
        .size:           8
        .value_kind:     global_buffer
      - .address_space:  global
        .offset:         72
        .size:           8
        .value_kind:     global_buffer
      - .offset:         80
        .size:           4
        .value_kind:     by_value
      - .address_space:  global
        .offset:         88
        .size:           8
        .value_kind:     global_buffer
      - .address_space:  global
        .offset:         96
        .size:           8
        .value_kind:     global_buffer
    .group_segment_fixed_size: 32640
    .kernarg_segment_align: 8
    .kernarg_segment_size: 104
    .language:       OpenCL C
    .language_version:
      - 2
      - 0
    .max_flat_workgroup_size: 170
    .name:           bluestein_single_fwd_len2040_dim1_dp_op_CI_CI
    .private_segment_fixed_size: 924
    .sgpr_count:     62
    .sgpr_spill_count: 0
    .symbol:         bluestein_single_fwd_len2040_dim1_dp_op_CI_CI.kd
    .uniform_work_group_size: 1
    .uses_dynamic_stack: false
    .vgpr_count:     256
    .vgpr_spill_count: 303
    .wavefront_size: 32
    .workgroup_processor_mode: 1
amdhsa.target:   amdgcn-amd-amdhsa--gfx1201
amdhsa.version:
  - 1
  - 2
...

	.end_amdgpu_metadata
